;; amdgpu-corpus repo=ROCm/rocFFT kind=compiled arch=gfx906 opt=O3
	.text
	.amdgcn_target "amdgcn-amd-amdhsa--gfx906"
	.amdhsa_code_object_version 6
	.protected	bluestein_single_fwd_len3645_dim1_sp_op_CI_CI ; -- Begin function bluestein_single_fwd_len3645_dim1_sp_op_CI_CI
	.globl	bluestein_single_fwd_len3645_dim1_sp_op_CI_CI
	.p2align	8
	.type	bluestein_single_fwd_len3645_dim1_sp_op_CI_CI,@function
bluestein_single_fwd_len3645_dim1_sp_op_CI_CI: ; @bluestein_single_fwd_len3645_dim1_sp_op_CI_CI
; %bb.0:
	s_load_dwordx4 s[16:19], s[4:5], 0x28
	v_mul_u32_u24_e32 v1, 0x10e, v0
	v_add_u32_sdwa v138, s6, v1 dst_sel:DWORD dst_unused:UNUSED_PAD src0_sel:DWORD src1_sel:WORD_1
	v_mov_b32_e32 v139, 0
	s_waitcnt lgkmcnt(0)
	v_cmp_gt_u64_e32 vcc, s[16:17], v[138:139]
	s_and_saveexec_b64 s[0:1], vcc
	s_cbranch_execz .LBB0_2
; %bb.1:
	s_load_dwordx4 s[0:3], s[4:5], 0x18
	s_load_dwordx4 s[8:11], s[4:5], 0x0
	s_movk_i32 s16, 0xf3
	v_mul_lo_u16_sdwa v1, v1, s16 dst_sel:DWORD dst_unused:UNUSED_PAD src0_sel:WORD_1 src1_sel:DWORD
	v_sub_u16_e32 v153, v0, v1
	s_waitcnt lgkmcnt(0)
	s_load_dwordx4 s[12:15], s[0:1], 0x0
	v_lshlrev_b32_e32 v151, 3, v153
	s_movk_i32 s7, 0x1000
	s_movk_i32 s6, 0x2000
	v_mov_b32_e32 v152, 0xffffac78
	s_waitcnt lgkmcnt(0)
	v_mad_u64_u32 v[0:1], s[0:1], s14, v138, 0
	v_mad_u64_u32 v[2:3], s[0:1], s12, v153, 0
	s_movk_i32 s14, 0x4000
	global_load_dwordx2 v[149:150], v151, s[8:9]
	v_mad_u64_u32 v[4:5], s[0:1], s15, v138, v[1:2]
	v_add_u32_e32 v155, 0x1e00, v151
	v_add_u32_e32 v179, 0x3500, v151
	v_mad_u64_u32 v[5:6], s[0:1], s13, v153, v[3:4]
	v_mov_b32_e32 v1, v4
	v_lshlrev_b64 v[0:1], 3, v[0:1]
	v_mov_b32_e32 v6, s19
	v_mov_b32_e32 v3, v5
	v_add_co_u32_e32 v4, vcc, s18, v0
	v_addc_co_u32_e32 v5, vcc, v6, v1, vcc
	v_lshlrev_b64 v[0:1], 3, v[2:3]
	s_mul_i32 s0, s13, 0x16c8
	v_add_co_u32_e32 v0, vcc, v4, v0
	v_addc_co_u32_e32 v1, vcc, v5, v1, vcc
	v_mov_b32_e32 v4, s9
	v_add_co_u32_e32 v160, vcc, s8, v151
	s_mul_hi_u32 s1, s12, 0x16c8
	v_addc_co_u32_e32 v161, vcc, 0, v4, vcc
	s_add_i32 s0, s1, s0
	s_mul_i32 s1, s12, 0x16c8
	global_load_dwordx2 v[2:3], v[0:1], off
	v_mov_b32_e32 v4, s0
	v_add_co_u32_e32 v0, vcc, s1, v0
	v_addc_co_u32_e32 v1, vcc, v1, v4, vcc
	v_add_co_u32_e32 v6, vcc, s7, v160
	v_addc_co_u32_e32 v7, vcc, 0, v161, vcc
	global_load_dwordx2 v[4:5], v[0:1], off
	v_mov_b32_e32 v8, s0
	v_add_co_u32_e32 v0, vcc, s1, v0
	v_addc_co_u32_e32 v1, vcc, v1, v8, vcc
	v_add_co_u32_e32 v10, vcc, s6, v160
	v_addc_co_u32_e32 v11, vcc, 0, v161, vcc
	;; [unrolled: 6-line block ×3, first 2 shown]
	global_load_dwordx2 v[12:13], v[0:1], off
	v_mov_b32_e32 v16, s0
	v_add_co_u32_e32 v0, vcc, s1, v0
	v_addc_co_u32_e32 v1, vcc, v1, v16, vcc
	s_movk_i32 s14, 0x5000
	global_load_dwordx2 v[16:17], v[0:1], off
	v_add_co_u32_e32 v18, vcc, s14, v160
	v_mad_u64_u32 v[0:1], s[14:15], s12, v152, v[0:1]
	s_mulk_i32 s13, 0xac78
	s_sub_i32 s14, s13, s12
	v_addc_co_u32_e32 v19, vcc, 0, v161, vcc
	v_add_u32_e32 v1, s14, v1
	global_load_dwordx2 v[147:148], v[6:7], off offset:1736
	global_load_dwordx2 v[145:146], v[10:11], off offset:3472
	global_load_dwordx2 v[141:142], v[14:15], off offset:1112
	global_load_dwordx2 v[143:144], v[18:19], off offset:2848
	global_load_dwordx2 v[20:21], v[0:1], off
	global_load_dwordx2 v[139:140], v151, s[8:9] offset:1944
	v_mov_b32_e32 v22, s0
	v_add_co_u32_e32 v0, vcc, s1, v0
	v_addc_co_u32_e32 v1, vcc, v1, v22, vcc
	global_load_dwordx2 v[22:23], v[0:1], off
	global_load_dwordx2 v[136:137], v[6:7], off offset:3680
	v_mov_b32_e32 v6, s0
	v_add_co_u32_e32 v0, vcc, s1, v0
	v_addc_co_u32_e32 v1, vcc, v1, v6, vcc
	s_movk_i32 s13, 0x3000
	v_add_co_u32_e32 v24, vcc, s13, v160
	v_addc_co_u32_e32 v25, vcc, 0, v161, vcc
	global_load_dwordx2 v[6:7], v[0:1], off
	v_mov_b32_e32 v26, s0
	v_add_co_u32_e32 v0, vcc, s1, v0
	v_addc_co_u32_e32 v1, vcc, v1, v26, vcc
	global_load_dwordx2 v[134:135], v[24:25], off offset:1320
	global_load_dwordx2 v[26:27], v[0:1], off
	global_load_dwordx2 v[130:131], v[14:15], off offset:3056
	v_mov_b32_e32 v14, s0
	v_add_co_u32_e32 v0, vcc, s1, v0
	v_addc_co_u32_e32 v1, vcc, v1, v14, vcc
	global_load_dwordx2 v[14:15], v[0:1], off
	v_mad_u64_u32 v[0:1], s[12:13], s12, v152, v[0:1]
	s_movk_i32 s15, 0x6000
	v_add_co_u32_e32 v28, vcc, s15, v160
	v_addc_co_u32_e32 v29, vcc, 0, v161, vcc
	v_add_u32_e32 v1, s14, v1
	global_load_dwordx2 v[132:133], v[28:29], off offset:696
	global_load_dwordx2 v[30:31], v[0:1], off
	global_load_dwordx2 v[128:129], v151, s[8:9] offset:3888
	v_mov_b32_e32 v32, s0
	v_add_co_u32_e32 v0, vcc, s1, v0
	v_addc_co_u32_e32 v1, vcc, v1, v32, vcc
	global_load_dwordx2 v[32:33], v[0:1], off
	global_load_dwordx2 v[126:127], v[10:11], off offset:1528
	v_mov_b32_e32 v10, s0
	v_add_co_u32_e32 v0, vcc, s1, v0
	v_addc_co_u32_e32 v1, vcc, v1, v10, vcc
	global_load_dwordx2 v[10:11], v[0:1], off
	global_load_dwordx2 v[124:125], v[24:25], off offset:3264
	;; [unrolled: 5-line block ×4, first 2 shown]
	s_waitcnt vmcnt(28)
	v_mul_f32_e32 v0, v3, v150
	v_mul_f32_e32 v1, v2, v150
	v_fmac_f32_e32 v0, v2, v149
	v_fma_f32 v1, v3, v149, -v1
	v_add_u32_e32 v154, 0x4bc0, v151
	v_add_u32_e32 v181, 0x6280, v151
	;; [unrolled: 1-line block ×4, first 2 shown]
	s_load_dwordx4 s[0:3], s[2:3], 0x0
	v_add_u32_e32 v159, 0xf00, v151
	v_add_u32_e32 v156, 0x5b00, v151
	s_waitcnt vmcnt(23)
	v_mul_f32_e32 v2, v5, v148
	v_mul_f32_e32 v3, v4, v148
	v_fmac_f32_e32 v2, v4, v147
	v_fma_f32 v3, v5, v147, -v3
	ds_write_b64 v151, v[2:3] offset:5832
	s_waitcnt vmcnt(22)
	v_mul_f32_e32 v2, v9, v146
	v_mul_f32_e32 v3, v8, v146
	v_fmac_f32_e32 v2, v8, v145
	v_fma_f32 v3, v9, v145, -v3
	ds_write_b64 v151, v[2:3] offset:11664
	;; [unrolled: 6-line block ×4, first 2 shown]
	s_waitcnt vmcnt(18)
	v_mul_f32_e32 v2, v21, v140
	v_mul_f32_e32 v3, v20, v140
	v_fmac_f32_e32 v2, v20, v139
	v_fma_f32 v3, v21, v139, -v3
	ds_write2_b64 v151, v[0:1], v[2:3] offset1:243
	s_waitcnt vmcnt(16)
	v_mul_f32_e32 v0, v23, v137
	v_mul_f32_e32 v1, v22, v137
	v_fmac_f32_e32 v0, v22, v136
	v_fma_f32 v1, v23, v136, -v1
	s_waitcnt vmcnt(14)
	v_mul_f32_e32 v2, v7, v135
	v_mul_f32_e32 v3, v6, v135
	v_fmac_f32_e32 v2, v6, v134
	v_fma_f32 v3, v7, v134, -v3
	;; [unrolled: 5-line block ×3, first 2 shown]
	s_movk_i32 s8, 0x2d9
	v_add_co_u32_e32 v112, vcc, s8, v153
	v_add_co_u32_e32 v100, vcc, s16, v153
	v_addc_co_u32_e64 v56, s[8:9], 0, 0, vcc
	s_waitcnt vmcnt(8)
	v_mul_f32_e32 v8, v31, v129
	v_mul_f32_e32 v9, v30, v129
	v_fmac_f32_e32 v8, v30, v128
	v_fma_f32 v9, v31, v128, -v9
	ds_write_b64 v151, v[8:9] offset:3888
	v_mul_f32_e32 v6, v15, v133
	s_waitcnt vmcnt(6)
	v_mul_f32_e32 v8, v33, v127
	v_mul_f32_e32 v9, v32, v127
	v_fmac_f32_e32 v8, v32, v126
	v_fma_f32 v9, v33, v126, -v9
	ds_write2_b64 v155, v[0:1], v[8:9] offset0:12 offset1:255
	v_mul_f32_e32 v7, v14, v133
	s_waitcnt vmcnt(4)
	v_mul_f32_e32 v0, v11, v125
	v_mul_f32_e32 v1, v10, v125
	v_fmac_f32_e32 v0, v10, v124
	v_fma_f32 v1, v11, v124, -v1
	ds_write2_b64 v179, v[2:3], v[0:1] offset0:5 offset1:248
	v_fmac_f32_e32 v6, v14, v132
	s_waitcnt vmcnt(2)
	v_mul_f32_e32 v0, v25, v123
	v_mul_f32_e32 v1, v24, v123
	v_fmac_f32_e32 v0, v24, v122
	v_fma_f32 v1, v25, v122, -v1
	ds_write2_b64 v154, v[4:5], v[0:1] offset0:6 offset1:249
	v_fma_f32 v7, v15, v132, -v7
	s_waitcnt vmcnt(0)
	v_mul_f32_e32 v0, v19, v121
	v_mul_f32_e32 v1, v18, v121
	v_fmac_f32_e32 v0, v18, v120
	v_fma_f32 v1, v19, v120, -v1
	ds_write2_b64 v181, v[6:7], v[0:1] offset0:7 offset1:250
	s_waitcnt lgkmcnt(0)
	s_barrier
	ds_read2_b64 v[8:11], v158 offset0:2 offset1:245
	ds_read2_b64 v[12:15], v157 offset0:8 offset1:251
	ds_read2_b64 v[0:3], v151 offset1:243
	ds_read2_b64 v[4:7], v159 offset0:6 offset1:249
	ds_read2_b64 v[16:19], v156 offset0:4 offset1:247
	;; [unrolled: 1-line block ×4, first 2 shown]
	ds_read_b64 v[28:29], v151 offset:27216
	s_movk_i32 s8, 0x1e6
	s_waitcnt lgkmcnt(6)
	v_add_f32_e32 v31, v8, v14
	s_waitcnt lgkmcnt(5)
	v_fma_f32 v32, -0.5, v31, v0
	s_waitcnt lgkmcnt(3)
	v_sub_f32_e32 v31, v7, v17
	v_mov_b32_e32 v34, v32
	v_fmac_f32_e32 v34, 0x3f737871, v31
	v_sub_f32_e32 v33, v9, v15
	v_sub_f32_e32 v35, v6, v8
	;; [unrolled: 1-line block ×3, first 2 shown]
	v_fmac_f32_e32 v32, 0xbf737871, v31
	v_fmac_f32_e32 v34, 0x3f167918, v33
	v_add_f32_e32 v35, v35, v36
	v_fmac_f32_e32 v32, 0xbf167918, v33
	v_fmac_f32_e32 v34, 0x3e9e377a, v35
	;; [unrolled: 1-line block ×3, first 2 shown]
	v_add_f32_e32 v35, v6, v16
	v_add_f32_e32 v30, v0, v6
	v_fma_f32 v0, -0.5, v35, v0
	v_mov_b32_e32 v36, v0
	v_fmac_f32_e32 v36, 0xbf737871, v33
	v_sub_f32_e32 v35, v8, v6
	v_sub_f32_e32 v37, v14, v16
	v_fmac_f32_e32 v0, 0x3f737871, v33
	v_add_f32_e32 v33, v9, v15
	v_add_f32_e32 v30, v30, v8
	v_fmac_f32_e32 v36, 0x3f167918, v31
	v_add_f32_e32 v35, v35, v37
	v_fmac_f32_e32 v0, 0xbf167918, v31
	v_fma_f32 v33, -0.5, v33, v1
	v_add_f32_e32 v30, v30, v14
	v_fmac_f32_e32 v36, 0x3e9e377a, v35
	v_fmac_f32_e32 v0, 0x3e9e377a, v35
	v_sub_f32_e32 v6, v6, v16
	v_mov_b32_e32 v35, v33
	v_add_f32_e32 v30, v30, v16
	v_fmac_f32_e32 v35, 0xbf737871, v6
	v_sub_f32_e32 v8, v8, v14
	v_sub_f32_e32 v14, v7, v9
	;; [unrolled: 1-line block ×3, first 2 shown]
	v_fmac_f32_e32 v33, 0x3f737871, v6
	v_fmac_f32_e32 v35, 0xbf167918, v8
	v_add_f32_e32 v14, v14, v16
	v_fmac_f32_e32 v33, 0x3f167918, v8
	v_fmac_f32_e32 v35, 0x3e9e377a, v14
	v_fmac_f32_e32 v33, 0x3e9e377a, v14
	v_add_f32_e32 v14, v7, v17
	v_add_f32_e32 v31, v1, v7
	v_fma_f32 v1, -0.5, v14, v1
	v_mov_b32_e32 v37, v1
	v_add_f32_e32 v31, v31, v9
	v_fmac_f32_e32 v37, 0x3f737871, v8
	v_sub_f32_e32 v7, v9, v7
	v_sub_f32_e32 v9, v15, v17
	v_fmac_f32_e32 v1, 0xbf737871, v8
	v_fmac_f32_e32 v37, 0xbf167918, v6
	v_add_f32_e32 v7, v7, v9
	v_fmac_f32_e32 v1, 0x3f167918, v6
	v_fmac_f32_e32 v37, 0x3e9e377a, v7
	;; [unrolled: 1-line block ×3, first 2 shown]
	s_waitcnt lgkmcnt(1)
	v_add_f32_e32 v7, v10, v24
	v_fma_f32 v8, -0.5, v7, v2
	v_sub_f32_e32 v7, v21, v19
	v_mov_b32_e32 v14, v8
	v_add_f32_e32 v31, v31, v15
	v_fmac_f32_e32 v14, 0x3f737871, v7
	v_sub_f32_e32 v9, v11, v25
	v_sub_f32_e32 v15, v20, v10
	;; [unrolled: 1-line block ×3, first 2 shown]
	v_fmac_f32_e32 v8, 0xbf737871, v7
	v_fmac_f32_e32 v14, 0x3f167918, v9
	v_add_f32_e32 v15, v15, v16
	v_fmac_f32_e32 v8, 0xbf167918, v9
	v_fmac_f32_e32 v14, 0x3e9e377a, v15
	;; [unrolled: 1-line block ×3, first 2 shown]
	v_add_f32_e32 v15, v20, v18
	v_add_f32_e32 v6, v2, v20
	v_fma_f32 v2, -0.5, v15, v2
	v_mov_b32_e32 v16, v2
	v_add_f32_e32 v31, v31, v17
	v_add_f32_e32 v6, v6, v10
	v_fmac_f32_e32 v16, 0xbf737871, v9
	v_sub_f32_e32 v15, v10, v20
	v_sub_f32_e32 v17, v24, v18
	v_fmac_f32_e32 v2, 0x3f737871, v9
	v_add_f32_e32 v9, v11, v25
	v_add_f32_e32 v6, v6, v24
	v_fmac_f32_e32 v16, 0x3f167918, v7
	v_add_f32_e32 v15, v15, v17
	v_fmac_f32_e32 v2, 0xbf167918, v7
	v_fma_f32 v9, -0.5, v9, v3
	v_add_f32_e32 v6, v6, v18
	v_fmac_f32_e32 v16, 0x3e9e377a, v15
	v_fmac_f32_e32 v2, 0x3e9e377a, v15
	v_sub_f32_e32 v18, v20, v18
	v_mov_b32_e32 v15, v9
	v_fmac_f32_e32 v15, 0xbf737871, v18
	v_sub_f32_e32 v10, v10, v24
	v_sub_f32_e32 v17, v21, v11
	;; [unrolled: 1-line block ×3, first 2 shown]
	v_fmac_f32_e32 v9, 0x3f737871, v18
	v_fmac_f32_e32 v15, 0xbf167918, v10
	v_add_f32_e32 v17, v17, v20
	v_fmac_f32_e32 v9, 0x3f167918, v10
	v_add_f32_e32 v7, v3, v21
	v_fmac_f32_e32 v15, 0x3e9e377a, v17
	v_fmac_f32_e32 v9, 0x3e9e377a, v17
	v_add_f32_e32 v17, v21, v19
	v_add_f32_e32 v7, v7, v11
	v_fmac_f32_e32 v3, -0.5, v17
	v_add_f32_e32 v7, v7, v25
	v_mov_b32_e32 v17, v3
	v_add_f32_e32 v7, v7, v19
	v_fmac_f32_e32 v17, 0x3f737871, v10
	v_sub_f32_e32 v11, v11, v21
	v_sub_f32_e32 v19, v25, v19
	v_fmac_f32_e32 v3, 0xbf737871, v10
	v_fmac_f32_e32 v17, 0xbf167918, v18
	v_add_f32_e32 v11, v11, v19
	v_fmac_f32_e32 v3, 0x3f167918, v18
	v_fmac_f32_e32 v17, 0x3e9e377a, v11
	;; [unrolled: 1-line block ×3, first 2 shown]
	v_add_f32_e32 v11, v12, v26
	v_fma_f32 v18, -0.5, v11, v4
	s_waitcnt lgkmcnt(0)
	v_sub_f32_e32 v11, v23, v29
	v_mov_b32_e32 v20, v18
	v_fmac_f32_e32 v20, 0x3f737871, v11
	v_sub_f32_e32 v19, v13, v27
	v_sub_f32_e32 v21, v22, v12
	;; [unrolled: 1-line block ×3, first 2 shown]
	v_fmac_f32_e32 v18, 0xbf737871, v11
	v_fmac_f32_e32 v20, 0x3f167918, v19
	v_add_f32_e32 v21, v21, v24
	v_fmac_f32_e32 v18, 0xbf167918, v19
	v_fmac_f32_e32 v20, 0x3e9e377a, v21
	;; [unrolled: 1-line block ×3, first 2 shown]
	v_add_f32_e32 v21, v22, v28
	v_add_f32_e32 v10, v4, v22
	v_fma_f32 v4, -0.5, v21, v4
	v_mov_b32_e32 v24, v4
	v_fmac_f32_e32 v24, 0xbf737871, v19
	v_sub_f32_e32 v21, v12, v22
	v_sub_f32_e32 v25, v26, v28
	v_fmac_f32_e32 v4, 0x3f737871, v19
	v_add_f32_e32 v19, v13, v27
	v_fmac_f32_e32 v24, 0x3f167918, v11
	v_add_f32_e32 v21, v21, v25
	v_fmac_f32_e32 v4, 0xbf167918, v11
	v_fma_f32 v19, -0.5, v19, v5
	v_add_f32_e32 v10, v10, v12
	v_fmac_f32_e32 v24, 0x3e9e377a, v21
	v_fmac_f32_e32 v4, 0x3e9e377a, v21
	v_sub_f32_e32 v22, v22, v28
	v_mov_b32_e32 v21, v19
	v_add_f32_e32 v10, v10, v26
	v_fmac_f32_e32 v21, 0xbf737871, v22
	v_sub_f32_e32 v12, v12, v26
	v_sub_f32_e32 v25, v23, v13
	;; [unrolled: 1-line block ×3, first 2 shown]
	v_fmac_f32_e32 v19, 0x3f737871, v22
	v_fmac_f32_e32 v21, 0xbf167918, v12
	v_add_f32_e32 v25, v25, v26
	v_fmac_f32_e32 v19, 0x3f167918, v12
	v_fmac_f32_e32 v21, 0x3e9e377a, v25
	;; [unrolled: 1-line block ×3, first 2 shown]
	v_add_f32_e32 v25, v23, v29
	v_add_f32_e32 v11, v5, v23
	v_fmac_f32_e32 v5, -0.5, v25
	v_mov_b32_e32 v25, v5
	v_fmac_f32_e32 v25, 0x3f737871, v12
	v_fmac_f32_e32 v5, 0xbf737871, v12
	v_mul_lo_u16_e32 v12, 5, v153
	v_lshlrev_b32_e32 v172, 3, v12
	v_add_co_u32_e32 v108, vcc, s8, v153
	s_barrier
	ds_write2_b64 v172, v[30:31], v[34:35] offset1:1
	ds_write2_b64 v172, v[36:37], v[0:1] offset0:2 offset1:3
	ds_write_b64 v172, v[32:33] offset:32
	v_mul_u32_u24_e32 v0, 5, v100
	v_lshlrev_b32_e32 v168, 3, v0
	v_mul_u32_u24_e32 v0, 5, v108
	s_movk_i32 s8, 0xcd
	v_lshlrev_b32_e32 v164, 3, v0
	v_mul_lo_u16_sdwa v0, v153, s8 dst_sel:DWORD dst_unused:UNUSED_PAD src0_sel:BYTE_0 src1_sel:DWORD
	v_lshrrev_b16_e32 v50, 10, v0
	v_mul_lo_u16_e32 v0, 5, v50
	v_add_f32_e32 v11, v11, v13
	v_sub_f32_e32 v13, v13, v23
	v_sub_f32_e32 v23, v27, v29
	v_sub_u16_e32 v0, v153, v0
	v_add_f32_e32 v11, v11, v27
	v_add_f32_e32 v13, v13, v23
	v_fmac_f32_e32 v5, 0x3f167918, v22
	v_and_b32_e32 v51, 0xff, v0
	v_add_f32_e32 v10, v10, v28
	v_add_f32_e32 v11, v11, v29
	v_fmac_f32_e32 v25, 0xbf167918, v22
	v_fmac_f32_e32 v5, 0x3e9e377a, v13
	v_lshlrev_b32_e32 v0, 4, v51
	s_mov_b32 s8, 0xcccd
	v_fmac_f32_e32 v25, 0x3e9e377a, v13
	ds_write2_b64 v168, v[6:7], v[14:15] offset1:1
	ds_write2_b64 v168, v[16:17], v[2:3] offset0:2 offset1:3
	ds_write_b64 v168, v[8:9] offset:32
	ds_write2_b64 v164, v[10:11], v[20:21] offset1:1
	ds_write2_b64 v164, v[24:25], v[4:5] offset0:2 offset1:3
	ds_write_b64 v164, v[18:19] offset:32
	s_waitcnt lgkmcnt(0)
	s_barrier
	global_load_dwordx4 v[4:7], v0, s[10:11]
	v_mul_u32_u24_sdwa v0, v100, s8 dst_sel:DWORD dst_unused:UNUSED_PAD src0_sel:WORD_0 src1_sel:DWORD
	v_lshrrev_b32_e32 v52, 18, v0
	v_mul_lo_u16_e32 v0, 5, v52
	v_sub_u16_e32 v53, v100, v0
	v_lshlrev_b16_e32 v0, 1, v53
	v_lshlrev_b32_e32 v0, 3, v0
	global_load_dwordx4 v[12:15], v0, s[10:11]
	v_mul_u32_u24_sdwa v0, v108, s8 dst_sel:DWORD dst_unused:UNUSED_PAD src0_sel:WORD_0 src1_sel:DWORD
	v_lshrrev_b32_e32 v54, 18, v0
	v_mul_lo_u16_e32 v0, 5, v54
	v_sub_u16_e32 v55, v108, v0
	v_lshlrev_b16_e32 v0, 1, v55
	v_lshlrev_b32_e32 v0, 3, v0
	global_load_dwordx4 v[20:23], v0, s[10:11]
	v_mul_u32_u24_sdwa v0, v112, s8 dst_sel:DWORD dst_unused:UNUSED_PAD src0_sel:WORD_0 src1_sel:DWORD
	v_lshrrev_b32_e32 v57, 18, v0
	v_mul_lo_u16_e32 v0, 5, v57
	v_sub_u16_e32 v58, v112, v0
	s_movk_i32 s9, 0x3cc
	v_lshlrev_b16_e32 v0, 1, v58
	v_lshlrev_b32_e32 v0, 3, v0
	v_add_co_u32_e32 v116, vcc, s9, v153
	global_load_dwordx4 v[28:31], v0, s[10:11]
	v_mul_u32_u24_sdwa v0, v116, s8 dst_sel:DWORD dst_unused:UNUSED_PAD src0_sel:WORD_0 src1_sel:DWORD
	v_lshrrev_b32_e32 v59, 18, v0
	v_mul_lo_u16_e32 v0, 5, v59
	v_sub_u16_e32 v60, v116, v0
	v_lshlrev_b16_e32 v0, 1, v60
	v_lshlrev_b32_e32 v0, 3, v0
	global_load_dwordx4 v[32:35], v0, s[10:11]
	ds_read2_b64 v[0:3], v151 offset1:243
	ds_read2_b64 v[8:11], v155 offset0:12 offset1:255
	ds_read2_b64 v[16:19], v154 offset0:6 offset1:249
	;; [unrolled: 1-line block ×6, first 2 shown]
	ds_read_b64 v[48:49], v151 offset:27216
	v_mul_u32_u24_e32 v50, 15, v50
	v_add_lshl_u32 v167, v50, v51, 3
	s_waitcnt vmcnt(0) lgkmcnt(0)
	s_barrier
	s_movk_i32 s8, 0x89
	v_mov_b32_e32 v117, s11
	s_movk_i32 s12, 0x87
	s_movk_i32 s14, 0xa2
	s_load_dwordx2 s[4:5], s[4:5], 0x38
	v_mul_f32_e32 v61, v11, v5
	v_fma_f32 v61, v10, v4, -v61
	v_mul_f32_e32 v62, v10, v5
	v_mul_f32_e32 v10, v17, v7
	v_fma_f32 v63, v16, v6, -v10
	v_fmac_f32_e32 v62, v11, v4
	v_mul_f32_e32 v64, v16, v7
	v_mul_f32_e32 v10, v25, v13
	v_fma_f32 v65, v24, v12, -v10
	v_mul_f32_e32 v66, v24, v13
	v_mul_f32_e32 v10, v19, v15
	v_fmac_f32_e32 v66, v25, v12
	v_fma_f32 v25, v18, v14, -v10
	v_add_f32_e32 v11, v61, v63
	v_mul_f32_e32 v10, v27, v21
	v_fma_f32 v68, v26, v20, -v10
	v_mul_f32_e32 v10, v41, v23
	v_fma_f32 v70, v40, v22, -v10
	v_fmac_f32_e32 v64, v17, v6
	v_add_f32_e32 v17, v62, v64
	v_mul_f32_e32 v67, v18, v15
	v_fmac_f32_e32 v67, v19, v14
	v_sub_f32_e32 v18, v61, v63
	v_add_f32_e32 v19, v65, v25
	v_mul_f32_e32 v10, v45, v29
	v_fma_f32 v72, v44, v28, -v10
	v_mul_f32_e32 v73, v44, v29
	v_mul_f32_e32 v10, v43, v31
	v_fmac_f32_e32 v73, v45, v28
	v_fma_f32 v45, v42, v30, -v10
	v_mul_f32_e32 v69, v26, v21
	v_mul_f32_e32 v10, v47, v33
	v_fma_f32 v75, v46, v32, -v10
	v_mul_f32_e32 v10, v49, v35
	v_fma_f32 v77, v48, v34, -v10
	v_add_f32_e32 v10, v0, v61
	v_fma_f32 v0, -0.5, v11, v0
	v_sub_f32_e32 v11, v62, v64
	v_mov_b32_e32 v16, v0
	v_fmac_f32_e32 v16, 0x3f5db3d7, v11
	v_fmac_f32_e32 v0, 0xbf5db3d7, v11
	v_add_f32_e32 v11, v1, v62
	v_fma_f32 v1, -0.5, v17, v1
	v_mov_b32_e32 v17, v1
	v_fmac_f32_e32 v17, 0xbf5db3d7, v18
	v_fmac_f32_e32 v1, 0x3f5db3d7, v18
	v_add_f32_e32 v18, v2, v65
	v_fma_f32 v2, -0.5, v19, v2
	v_sub_f32_e32 v19, v66, v67
	v_mov_b32_e32 v24, v2
	v_add_f32_e32 v26, v66, v67
	v_add_f32_e32 v10, v10, v63
	v_add_f32_e32 v11, v11, v64
	v_fmac_f32_e32 v24, 0x3f5db3d7, v19
	v_fmac_f32_e32 v2, 0xbf5db3d7, v19
	v_add_f32_e32 v19, v3, v66
	v_fmac_f32_e32 v3, -0.5, v26
	v_fmac_f32_e32 v69, v27, v20
	v_mul_f32_e32 v71, v40, v23
	v_add_f32_e32 v18, v18, v25
	v_sub_f32_e32 v26, v65, v25
	v_mov_b32_e32 v25, v3
	v_add_f32_e32 v27, v68, v70
	ds_write2_b64 v167, v[10:11], v[16:17] offset1:5
	ds_write_b64 v167, v[0:1] offset:80
	v_mad_legacy_u16 v0, v52, 15, v53
	v_fmac_f32_e32 v71, v41, v22
	v_fmac_f32_e32 v25, 0xbf5db3d7, v26
	;; [unrolled: 1-line block ×3, first 2 shown]
	v_add_f32_e32 v26, v36, v68
	v_fma_f32 v36, -0.5, v27, v36
	v_lshlrev_b32_e32 v166, 3, v0
	v_mad_legacy_u16 v0, v54, 15, v55
	v_sub_f32_e32 v27, v69, v71
	v_mov_b32_e32 v40, v36
	v_add_f32_e32 v41, v69, v71
	v_lshlrev_b32_e32 v165, 3, v0
	v_mad_legacy_u16 v0, v57, 15, v58
	v_mul_f32_e32 v74, v42, v31
	v_fmac_f32_e32 v40, 0x3f5db3d7, v27
	v_fmac_f32_e32 v36, 0xbf5db3d7, v27
	v_add_f32_e32 v27, v37, v69
	v_fma_f32 v37, -0.5, v41, v37
	v_lshlrev_b32_e32 v163, 3, v0
	v_mad_legacy_u16 v0, v59, 15, v60
	v_fmac_f32_e32 v74, v43, v30
	v_sub_f32_e32 v42, v68, v70
	v_mov_b32_e32 v41, v37
	v_add_f32_e32 v43, v72, v45
	v_lshlrev_b32_e32 v162, 3, v0
	v_mul_lo_u16_sdwa v0, v153, s8 dst_sel:DWORD dst_unused:UNUSED_PAD src0_sel:BYTE_0 src1_sel:DWORD
	v_fmac_f32_e32 v41, 0xbf5db3d7, v42
	v_fmac_f32_e32 v37, 0x3f5db3d7, v42
	v_add_f32_e32 v42, v38, v72
	v_fma_f32 v38, -0.5, v43, v38
	v_lshrrev_b16_e32 v57, 11, v0
	v_mul_f32_e32 v76, v46, v33
	v_sub_f32_e32 v43, v73, v74
	v_mov_b32_e32 v44, v38
	v_add_f32_e32 v46, v73, v74
	v_mul_lo_u16_e32 v0, 15, v57
	v_fmac_f32_e32 v44, 0x3f5db3d7, v43
	v_fmac_f32_e32 v38, 0xbf5db3d7, v43
	v_add_f32_e32 v43, v39, v73
	v_fmac_f32_e32 v39, -0.5, v46
	v_sub_u16_e32 v0, v153, v0
	s_mov_b32 s8, 0x8889
	v_fmac_f32_e32 v76, v47, v32
	v_mul_f32_e32 v78, v48, v35
	v_add_f32_e32 v42, v42, v45
	v_sub_f32_e32 v46, v72, v45
	v_mov_b32_e32 v45, v39
	v_add_f32_e32 v47, v75, v77
	v_and_b32_e32 v58, 0xff, v0
	v_mul_u32_u24_sdwa v0, v100, s8 dst_sel:DWORD dst_unused:UNUSED_PAD src0_sel:WORD_0 src1_sel:DWORD
	v_fmac_f32_e32 v78, v49, v34
	v_fmac_f32_e32 v45, 0xbf5db3d7, v46
	;; [unrolled: 1-line block ×3, first 2 shown]
	v_add_f32_e32 v46, v8, v75
	v_fma_f32 v8, -0.5, v47, v8
	v_lshrrev_b32_e32 v59, 19, v0
	v_sub_f32_e32 v47, v76, v78
	v_mov_b32_e32 v48, v8
	v_add_f32_e32 v49, v76, v78
	v_mul_lo_u16_e32 v0, 15, v59
	v_fmac_f32_e32 v48, 0x3f5db3d7, v47
	v_fmac_f32_e32 v8, 0xbf5db3d7, v47
	v_add_f32_e32 v47, v9, v76
	v_fmac_f32_e32 v9, -0.5, v49
	v_sub_u16_e32 v60, v100, v0
	v_add_f32_e32 v19, v19, v67
	v_sub_f32_e32 v61, v75, v77
	v_mov_b32_e32 v49, v9
	v_lshlrev_b16_e32 v0, 4, v60
	v_add_f32_e32 v26, v26, v70
	v_add_f32_e32 v27, v27, v71
	v_add_f32_e32 v43, v43, v74
	v_add_f32_e32 v46, v46, v77
	v_add_f32_e32 v47, v47, v78
	v_fmac_f32_e32 v49, 0xbf5db3d7, v61
	v_fmac_f32_e32 v9, 0x3f5db3d7, v61
	ds_write2_b64 v166, v[18:19], v[24:25] offset1:5
	ds_write_b64 v166, v[2:3] offset:80
	v_lshlrev_b32_e32 v18, 4, v58
	v_add_co_u32_e32 v16, vcc, s10, v0
	ds_write2_b64 v165, v[26:27], v[40:41] offset1:5
	ds_write_b64 v165, v[36:37] offset:80
	ds_write2_b64 v163, v[42:43], v[44:45] offset1:5
	ds_write_b64 v163, v[38:39] offset:80
	;; [unrolled: 2-line block ×3, first 2 shown]
	s_waitcnt lgkmcnt(0)
	s_barrier
	v_addc_co_u32_e32 v17, vcc, 0, v117, vcc
	global_load_dwordx4 v[0:3], v18, s[10:11] offset:80
	global_load_dwordx4 v[8:11], v[16:17], off offset:80
	v_mul_u32_u24_sdwa v16, v108, s8 dst_sel:DWORD dst_unused:UNUSED_PAD src0_sel:WORD_0 src1_sel:DWORD
	v_lshrrev_b32_e32 v61, 19, v16
	v_mul_lo_u16_e32 v16, 15, v61
	v_mul_u32_u24_sdwa v24, v112, s8 dst_sel:DWORD dst_unused:UNUSED_PAD src0_sel:WORD_0 src1_sel:DWORD
	v_sub_u16_e32 v62, v108, v16
	v_lshrrev_b32_e32 v63, 19, v24
	v_lshlrev_b16_e32 v16, 4, v62
	v_mul_lo_u16_e32 v24, 15, v63
	v_add_co_u32_e32 v16, vcc, s10, v16
	v_sub_u16_e32 v64, v112, v24
	v_mul_u32_u24_sdwa v36, v116, s8 dst_sel:DWORD dst_unused:UNUSED_PAD src0_sel:WORD_0 src1_sel:DWORD
	v_addc_co_u32_e32 v17, vcc, 0, v117, vcc
	v_lshlrev_b16_e32 v24, 4, v64
	v_lshrrev_b32_e32 v65, 19, v36
	global_load_dwordx4 v[16:19], v[16:17], off offset:80
	v_add_co_u32_e32 v24, vcc, s10, v24
	v_mul_lo_u16_e32 v36, 15, v65
	v_addc_co_u32_e32 v25, vcc, 0, v117, vcc
	global_load_dwordx4 v[24:27], v[24:25], off offset:80
	v_sub_u16_e32 v66, v116, v36
	v_lshlrev_b16_e32 v36, 4, v66
	v_add_co_u32_e32 v36, vcc, s10, v36
	v_addc_co_u32_e32 v37, vcc, 0, v117, vcc
	global_load_dwordx4 v[36:39], v[36:37], off offset:80
	ds_read2_b64 v[40:43], v154 offset0:6 offset1:249
	ds_read2_b64 v[44:47], v158 offset0:2 offset1:245
	ds_read2_b64 v[48:51], v156 offset0:4 offset1:247
	ds_read2_b64 v[52:55], v157 offset0:8 offset1:251
	s_movk_i32 s8, 0x6d
	s_waitcnt vmcnt(4) lgkmcnt(3)
	v_mul_f32_e32 v67, v41, v3
	v_fma_f32 v67, v40, v2, -v67
	v_mul_f32_e32 v68, v40, v3
	s_waitcnt vmcnt(3) lgkmcnt(2)
	v_mul_f32_e32 v40, v45, v9
	v_fma_f32 v69, v44, v8, -v40
	v_mul_f32_e32 v40, v43, v11
	v_fma_f32 v70, v42, v10, -v40
	v_mul_f32_e32 v71, v42, v11
	v_fmac_f32_e32 v68, v41, v2
	v_fmac_f32_e32 v71, v43, v10
	v_mul_f32_e32 v72, v44, v9
	v_fmac_f32_e32 v72, v45, v8
	s_waitcnt vmcnt(2)
	v_mul_f32_e32 v40, v47, v17
	v_fma_f32 v73, v46, v16, -v40
	s_waitcnt lgkmcnt(1)
	v_mul_f32_e32 v40, v49, v19
	v_fma_f32 v75, v48, v18, -v40
	v_mul_f32_e32 v74, v46, v17
	v_fmac_f32_e32 v74, v47, v16
	s_waitcnt vmcnt(1) lgkmcnt(0)
	v_mul_f32_e32 v40, v53, v25
	v_fma_f32 v77, v52, v24, -v40
	v_mul_f32_e32 v40, v51, v27
	v_fma_f32 v78, v50, v26, -v40
	ds_read2_b64 v[40:43], v155 offset0:12 offset1:255
	v_mul_f32_e32 v76, v48, v19
	v_mul_f32_e32 v80, v52, v25
	s_waitcnt vmcnt(0)
	v_mul_f32_e32 v44, v55, v37
	v_fma_f32 v81, v54, v36, -v44
	ds_read2_b64 v[44:47], v151 offset1:243
	s_waitcnt lgkmcnt(1)
	v_mul_f32_e32 v48, v43, v1
	v_fma_f32 v52, v42, v0, -v48
	v_mul_f32_e32 v42, v42, v1
	v_fmac_f32_e32 v42, v43, v0
	s_waitcnt lgkmcnt(0)
	v_add_f32_e32 v43, v44, v52
	v_add_f32_e32 v48, v43, v67
	;; [unrolled: 1-line block ×3, first 2 shown]
	v_fmac_f32_e32 v76, v49, v18
	v_mul_f32_e32 v79, v50, v27
	v_add_f32_e32 v49, v43, v68
	v_sub_f32_e32 v83, v42, v68
	v_add_f32_e32 v42, v42, v68
	v_add_f32_e32 v43, v52, v67
	v_fmac_f32_e32 v79, v51, v26
	v_fma_f32 v50, -0.5, v43, v44
	v_fma_f32 v51, -0.5, v42, v45
	v_fmac_f32_e32 v80, v53, v24
	v_sub_f32_e32 v67, v52, v67
	v_mul_u32_u24_e32 v42, 45, v57
	v_mov_b32_e32 v52, v50
	v_mov_b32_e32 v53, v51
	v_mul_f32_e32 v82, v54, v37
	v_add_lshl_u32 v169, v42, v58, 3
	v_fmac_f32_e32 v52, 0x3f5db3d7, v83
	v_fmac_f32_e32 v53, 0xbf5db3d7, v67
	;; [unrolled: 1-line block ×5, first 2 shown]
	ds_read_b64 v[54:55], v151 offset:27216
	ds_read2_b64 v[42:45], v159 offset0:6 offset1:249
	s_waitcnt lgkmcnt(0)
	s_barrier
	ds_write2_b64 v169, v[48:49], v[52:53] offset1:15
	ds_write_b64 v169, v[50:51] offset:240
	v_add_f32_e32 v49, v69, v70
	v_add_f32_e32 v50, v72, v71
	;; [unrolled: 1-line block ×3, first 2 shown]
	v_fma_f32 v46, -0.5, v49, v46
	v_add_f32_e32 v49, v47, v72
	v_fmac_f32_e32 v47, -0.5, v50
	v_sub_f32_e32 v52, v72, v71
	v_sub_f32_e32 v53, v69, v70
	v_mad_legacy_u16 v57, v59, 45, v60
	v_mov_b32_e32 v50, v46
	v_mov_b32_e32 v51, v47
	v_add_f32_e32 v48, v48, v70
	v_add_f32_e32 v49, v49, v71
	v_fmac_f32_e32 v50, 0x3f5db3d7, v52
	v_fmac_f32_e32 v51, 0xbf5db3d7, v53
	v_lshlrev_b32_e32 v170, 3, v57
	ds_write2_b64 v170, v[48:49], v[50:51] offset1:15
	v_fmac_f32_e32 v46, 0xbf5db3d7, v52
	v_fmac_f32_e32 v47, 0x3f5db3d7, v53
	v_add_f32_e32 v48, v74, v76
	v_add_f32_e32 v49, v73, v75
	ds_write_b64 v170, v[46:47] offset:240
	v_add_f32_e32 v46, v42, v73
	v_add_f32_e32 v47, v43, v74
	v_fma_f32 v42, -0.5, v49, v42
	v_fma_f32 v43, -0.5, v48, v43
	v_sub_f32_e32 v50, v74, v76
	v_sub_f32_e32 v51, v73, v75
	v_mad_legacy_u16 v52, v61, 45, v62
	v_mov_b32_e32 v48, v42
	v_mov_b32_e32 v49, v43
	v_add_f32_e32 v46, v46, v75
	v_add_f32_e32 v47, v47, v76
	v_fmac_f32_e32 v48, 0x3f5db3d7, v50
	v_fmac_f32_e32 v49, 0xbf5db3d7, v51
	v_lshlrev_b32_e32 v171, 3, v52
	ds_write2_b64 v171, v[46:47], v[48:49] offset1:15
	v_mul_f32_e32 v46, v55, v39
	v_fma_f32 v57, v54, v38, -v46
	v_add_f32_e32 v46, v77, v78
	v_add_f32_e32 v47, v44, v77
	v_fma_f32 v44, -0.5, v46, v44
	v_sub_f32_e32 v48, v80, v79
	v_mov_b32_e32 v46, v44
	v_fmac_f32_e32 v46, 0x3f5db3d7, v48
	v_fmac_f32_e32 v44, 0xbf5db3d7, v48
	v_add_f32_e32 v48, v47, v78
	v_add_f32_e32 v47, v45, v80
	;; [unrolled: 1-line block ×4, first 2 shown]
	v_fmac_f32_e32 v45, -0.5, v47
	v_fmac_f32_e32 v42, 0xbf5db3d7, v50
	v_sub_f32_e32 v50, v77, v78
	v_mov_b32_e32 v47, v45
	v_mul_f32_e32 v54, v54, v39
	v_fmac_f32_e32 v47, 0xbf5db3d7, v50
	v_fmac_f32_e32 v45, 0x3f5db3d7, v50
	v_add_f32_e32 v50, v81, v57
	v_fmac_f32_e32 v54, v55, v38
	v_fmac_f32_e32 v43, 0x3f5db3d7, v51
	v_add_f32_e32 v51, v40, v81
	v_fma_f32 v40, -0.5, v50, v40
	v_sub_f32_e32 v52, v82, v54
	v_mov_b32_e32 v50, v40
	v_fmac_f32_e32 v50, 0x3f5db3d7, v52
	v_fmac_f32_e32 v40, 0xbf5db3d7, v52
	v_add_f32_e32 v52, v51, v57
	v_add_f32_e32 v51, v41, v82
	;; [unrolled: 1-line block ×4, first 2 shown]
	v_fmac_f32_e32 v41, -0.5, v51
	ds_write_b64 v171, v[42:43] offset:240
	v_mad_legacy_u16 v42, v63, 45, v64
	v_sub_f32_e32 v54, v81, v57
	v_mov_b32_e32 v51, v41
	v_lshlrev_b32_e32 v174, 3, v42
	v_mad_legacy_u16 v42, v65, 45, v66
	v_fmac_f32_e32 v51, 0xbf5db3d7, v54
	v_lshlrev_b32_e32 v175, 3, v42
	v_fmac_f32_e32 v41, 0x3f5db3d7, v54
	ds_write2_b64 v174, v[48:49], v[46:47] offset1:15
	ds_write_b64 v174, v[44:45] offset:240
	ds_write2_b64 v175, v[52:53], v[50:51] offset1:15
	ds_write_b64 v175, v[40:41] offset:240
	v_mul_lo_u16_sdwa v40, v153, s8 dst_sel:DWORD dst_unused:UNUSED_PAD src0_sel:BYTE_0 src1_sel:DWORD
	v_sub_u16_sdwa v41, v153, v40 dst_sel:DWORD dst_unused:UNUSED_PAD src0_sel:DWORD src1_sel:BYTE_1
	v_lshrrev_b16_e32 v41, 1, v41
	v_and_b32_e32 v41, 0x7f, v41
	s_movk_i32 s8, 0x2d83
	v_add_u16_sdwa v40, v41, v40 dst_sel:DWORD dst_unused:UNUSED_PAD src0_sel:DWORD src1_sel:BYTE_1
	v_mul_u32_u24_sdwa v41, v100, s8 dst_sel:DWORD dst_unused:UNUSED_PAD src0_sel:WORD_0 src1_sel:DWORD
	v_lshrrev_b32_e32 v63, 19, v41
	v_lshrrev_b16_e32 v61, 5, v40
	v_mul_lo_u16_e32 v41, 45, v63
	v_mul_lo_u16_e32 v40, 45, v61
	v_sub_u16_e32 v78, v100, v41
	v_sub_u16_e32 v40, v153, v40
	v_lshlrev_b16_e32 v41, 4, v78
	v_and_b32_e32 v62, 0xff, v40
	v_add_co_u32_e32 v44, vcc, s10, v41
	v_lshlrev_b32_e32 v40, 4, v62
	v_addc_co_u32_e32 v45, vcc, 0, v117, vcc
	s_waitcnt lgkmcnt(0)
	s_barrier
	global_load_dwordx4 v[40:43], v40, s[10:11] offset:320
	s_nop 0
	global_load_dwordx4 v[44:47], v[44:45], off offset:320
	v_mul_u32_u24_sdwa v48, v108, s8 dst_sel:DWORD dst_unused:UNUSED_PAD src0_sel:WORD_0 src1_sel:DWORD
	v_lshrrev_b32_e32 v79, 19, v48
	v_mul_lo_u16_e32 v48, 45, v79
	v_sub_u16_e32 v80, v108, v48
	v_lshlrev_b16_e32 v48, 4, v80
	v_add_co_u32_e32 v48, vcc, s10, v48
	v_addc_co_u32_e32 v49, vcc, 0, v117, vcc
	v_mul_u32_u24_sdwa v50, v112, s8 dst_sel:DWORD dst_unused:UNUSED_PAD src0_sel:WORD_0 src1_sel:DWORD
	v_lshrrev_b32_e32 v81, 19, v50
	global_load_dwordx4 v[48:51], v[48:49], off offset:320
	v_mul_lo_u16_e32 v52, 45, v81
	v_sub_u16_e32 v82, v112, v52
	v_mul_u32_u24_sdwa v57, v116, s8 dst_sel:DWORD dst_unused:UNUSED_PAD src0_sel:WORD_0 src1_sel:DWORD
	v_lshlrev_b16_e32 v52, 4, v82
	v_lshrrev_b32_e32 v83, 19, v57
	v_add_co_u32_e32 v52, vcc, s10, v52
	v_mul_lo_u16_e32 v57, 45, v83
	v_addc_co_u32_e32 v53, vcc, 0, v117, vcc
	global_load_dwordx4 v[52:55], v[52:53], off offset:320
	v_sub_u16_e32 v84, v116, v57
	v_lshlrev_b16_e32 v57, 4, v84
	v_add_co_u32_e32 v57, vcc, s10, v57
	v_addc_co_u32_e32 v58, vcc, 0, v117, vcc
	global_load_dwordx4 v[64:67], v[57:58], off offset:320
	ds_read2_b64 v[57:60], v154 offset0:6 offset1:249
	v_mad_legacy_u16 v63, v63, s12, v78
	v_lshlrev_b32_e32 v185, 3, v63
	s_movk_i32 s8, 0xff79
	s_waitcnt vmcnt(4) lgkmcnt(0)
	v_mul_f32_e32 v68, v58, v43
	v_fma_f32 v74, v57, v42, -v68
	ds_read2_b64 v[68:71], v158 offset0:2 offset1:245
	v_mul_f32_e32 v75, v57, v43
	s_waitcnt vmcnt(3)
	v_mul_f32_e32 v57, v60, v47
	v_fma_f32 v85, v59, v46, -v57
	v_mul_f32_e32 v86, v59, v47
	s_waitcnt lgkmcnt(0)
	v_mul_f32_e32 v57, v69, v45
	v_fmac_f32_e32 v75, v58, v42
	v_fmac_f32_e32 v86, v60, v46
	v_fma_f32 v87, v68, v44, -v57
	ds_read2_b64 v[57:60], v156 offset0:4 offset1:247
	v_mul_f32_e32 v88, v68, v45
	s_waitcnt vmcnt(2)
	v_mul_f32_e32 v68, v71, v49
	v_fma_f32 v89, v70, v48, -v68
	v_mul_f32_e32 v90, v70, v49
	s_waitcnt lgkmcnt(0)
	v_mul_f32_e32 v68, v58, v51
	v_fmac_f32_e32 v88, v69, v44
	v_fmac_f32_e32 v90, v71, v48
	v_fma_f32 v91, v57, v50, -v68
	ds_read2_b64 v[68:71], v157 offset0:8 offset1:251
	v_mul_f32_e32 v92, v57, v51
	v_fmac_f32_e32 v92, v58, v50
	s_waitcnt vmcnt(1)
	v_mul_f32_e32 v57, v60, v55
	v_fma_f32 v93, v59, v54, -v57
	v_mul_f32_e32 v94, v59, v55
	s_waitcnt lgkmcnt(0)
	v_mul_f32_e32 v57, v69, v53
	v_fmac_f32_e32 v94, v60, v54
	v_fma_f32 v95, v68, v52, -v57
	ds_read2_b64 v[57:60], v155 offset0:12 offset1:255
	v_mul_f32_e32 v96, v68, v53
	s_waitcnt vmcnt(0)
	v_mul_f32_e32 v68, v71, v65
	v_mul_f32_e32 v98, v70, v65
	v_fmac_f32_e32 v96, v69, v52
	v_fma_f32 v97, v70, v64, -v68
	v_fmac_f32_e32 v98, v71, v64
	ds_read2_b64 v[68:71], v151 offset1:243
	s_waitcnt lgkmcnt(1)
	v_mul_f32_e32 v72, v60, v41
	v_fma_f32 v76, v59, v40, -v72
	v_mul_f32_e32 v59, v59, v41
	v_fmac_f32_e32 v59, v60, v40
	s_waitcnt lgkmcnt(0)
	v_add_f32_e32 v60, v68, v76
	v_add_f32_e32 v72, v60, v74
	;; [unrolled: 1-line block ×4, first 2 shown]
	v_sub_f32_e32 v99, v59, v75
	v_add_f32_e32 v59, v59, v75
	v_add_f32_e32 v60, v76, v74
	v_fma_f32 v68, -0.5, v60, v68
	v_fma_f32 v69, -0.5, v59, v69
	v_mul_u32_u24_e32 v59, 0x87, v61
	v_sub_f32_e32 v101, v76, v74
	v_add_lshl_u32 v184, v59, v62, 3
	v_mov_b32_e32 v74, v68
	v_mov_b32_e32 v75, v69
	ds_read_b64 v[76:77], v151 offset:27216
	ds_read2_b64 v[59:62], v159 offset0:6 offset1:249
	v_fmac_f32_e32 v74, 0x3f5db3d7, v99
	v_fmac_f32_e32 v75, 0xbf5db3d7, v101
	;; [unrolled: 1-line block ×4, first 2 shown]
	s_waitcnt lgkmcnt(0)
	s_barrier
	ds_write2_b64 v184, v[72:73], v[74:75] offset1:45
	ds_write_b64 v184, v[68:69] offset:720
	v_add_f32_e32 v69, v87, v85
	v_add_f32_e32 v72, v88, v86
	;; [unrolled: 1-line block ×3, first 2 shown]
	v_fma_f32 v70, -0.5, v69, v70
	v_add_f32_e32 v69, v71, v88
	v_sub_f32_e32 v74, v88, v86
	v_fmac_f32_e32 v71, -0.5, v72
	v_sub_f32_e32 v75, v87, v85
	v_mov_b32_e32 v72, v70
	v_mov_b32_e32 v73, v71
	v_fmac_f32_e32 v70, 0xbf5db3d7, v74
	v_fmac_f32_e32 v71, 0x3f5db3d7, v75
	v_add_f32_e32 v68, v68, v85
	v_add_f32_e32 v69, v69, v86
	v_fmac_f32_e32 v72, 0x3f5db3d7, v74
	v_fmac_f32_e32 v73, 0xbf5db3d7, v75
	ds_write_b64 v185, v[70:71] offset:720
	v_add_f32_e32 v63, v59, v89
	v_add_f32_e32 v70, v90, v92
	;; [unrolled: 1-line block ×3, first 2 shown]
	ds_write2_b64 v185, v[68:69], v[72:73] offset1:45
	v_add_f32_e32 v68, v63, v91
	v_add_f32_e32 v63, v60, v90
	v_fma_f32 v59, -0.5, v71, v59
	v_fma_f32 v60, -0.5, v70, v60
	v_add_f32_e32 v69, v63, v92
	v_sub_f32_e32 v63, v90, v92
	v_sub_f32_e32 v72, v89, v91
	v_mad_legacy_u16 v73, v79, s12, v80
	v_mov_b32_e32 v70, v59
	v_mov_b32_e32 v71, v60
	v_fmac_f32_e32 v70, 0x3f5db3d7, v63
	v_fmac_f32_e32 v71, 0xbf5db3d7, v72
	v_lshlrev_b32_e32 v186, 3, v73
	v_fmac_f32_e32 v59, 0xbf5db3d7, v63
	v_fmac_f32_e32 v60, 0x3f5db3d7, v72
	ds_write2_b64 v186, v[68:69], v[70:71] offset1:45
	ds_write_b64 v186, v[59:60] offset:720
	v_add_f32_e32 v60, v95, v93
	v_add_f32_e32 v68, v96, v94
	;; [unrolled: 1-line block ×3, first 2 shown]
	v_fma_f32 v61, -0.5, v60, v61
	v_add_f32_e32 v60, v62, v96
	v_fmac_f32_e32 v62, -0.5, v68
	v_sub_f32_e32 v63, v96, v94
	v_sub_f32_e32 v70, v95, v93
	v_mad_legacy_u16 v71, v81, s12, v82
	v_mov_b32_e32 v68, v61
	v_mov_b32_e32 v69, v62
	v_add_f32_e32 v59, v59, v93
	v_add_f32_e32 v60, v60, v94
	v_fmac_f32_e32 v68, 0x3f5db3d7, v63
	v_fmac_f32_e32 v69, 0xbf5db3d7, v70
	v_lshlrev_b32_e32 v182, 3, v71
	ds_write2_b64 v182, v[59:60], v[68:69] offset1:45
	v_fmac_f32_e32 v61, 0xbf5db3d7, v63
	v_fmac_f32_e32 v62, 0x3f5db3d7, v70
	v_mul_f32_e32 v59, v77, v67
	ds_write_b64 v182, v[61:62] offset:720
	v_fma_f32 v61, v76, v66, -v59
	v_mul_f32_e32 v62, v76, v67
	v_add_f32_e32 v60, v97, v61
	v_fmac_f32_e32 v62, v77, v66
	v_add_f32_e32 v59, v57, v97
	v_fma_f32 v57, -0.5, v60, v57
	v_add_f32_e32 v60, v58, v98
	v_add_f32_e32 v60, v60, v62
	v_sub_f32_e32 v63, v98, v62
	v_add_f32_e32 v62, v98, v62
	v_fmac_f32_e32 v58, -0.5, v62
	v_sub_f32_e32 v68, v97, v61
	v_mad_legacy_u16 v69, v83, s12, v84
	v_add_f32_e32 v59, v59, v61
	v_mov_b32_e32 v61, v57
	v_mov_b32_e32 v62, v58
	v_lshlrev_b32_e32 v183, 3, v69
	v_fmac_f32_e32 v57, 0xbf5db3d7, v63
	v_fmac_f32_e32 v58, 0x3f5db3d7, v68
	ds_write_b64 v183, v[57:58] offset:720
	v_add_co_u32_e32 v57, vcc, s8, v153
	v_addc_co_u32_e64 v58, s[8:9], 0, -1, vcc
	v_fmac_f32_e32 v61, 0x3f5db3d7, v63
	v_fmac_f32_e32 v62, 0xbf5db3d7, v68
	v_cmp_gt_u16_e32 vcc, s12, v153
	s_movk_i32 s8, 0x795d
	ds_write2_b64 v183, v[59:60], v[61:62] offset1:45
	v_cndmask_b32_e64 v62, v58, 0, vcc
	v_cndmask_b32_e32 v61, v57, v153, vcc
	v_mul_u32_u24_sdwa v59, v100, s8 dst_sel:DWORD dst_unused:UNUSED_PAD src0_sel:WORD_0 src1_sel:DWORD
	v_lshlrev_b64 v[57:58], 4, v[61:62]
	v_lshrrev_b32_e32 v63, 22, v59
	v_mul_lo_u16_e32 v59, 0x87, v63
	v_add_co_u32_e32 v57, vcc, s10, v57
	v_sub_u16_e32 v94, v100, v59
	v_addc_co_u32_e32 v58, vcc, v117, v58, vcc
	v_lshlrev_b16_e32 v59, 4, v94
	v_add_co_u32_e32 v59, vcc, s10, v59
	s_waitcnt lgkmcnt(0)
	s_barrier
	v_addc_co_u32_e32 v60, vcc, 0, v117, vcc
	global_load_dwordx4 v[88:91], v[57:58], off offset:1040
	global_load_dwordx4 v[80:83], v[59:60], off offset:1040
	v_mul_u32_u24_sdwa v57, v108, s8 dst_sel:DWORD dst_unused:UNUSED_PAD src0_sel:WORD_0 src1_sel:DWORD
	v_lshrrev_b32_e32 v95, 22, v57
	v_mul_lo_u16_e32 v57, 0x87, v95
	v_sub_u16_e32 v101, v108, v57
	v_mul_u32_u24_sdwa v59, v112, s8 dst_sel:DWORD dst_unused:UNUSED_PAD src0_sel:WORD_0 src1_sel:DWORD
	v_lshlrev_b16_e32 v57, 4, v101
	v_lshrrev_b32_e32 v102, 22, v59
	v_add_co_u32_e32 v57, vcc, s10, v57
	v_mul_lo_u16_e32 v59, 0x87, v102
	v_addc_co_u32_e32 v58, vcc, 0, v117, vcc
	v_sub_u16_e32 v103, v112, v59
	global_load_dwordx4 v[96:99], v[57:58], off offset:1040
	v_lshlrev_b16_e32 v57, 4, v103
	v_add_co_u32_e32 v57, vcc, s10, v57
	v_addc_co_u32_e32 v58, vcc, 0, v117, vcc
	global_load_dwordx4 v[68:71], v[57:58], off offset:1040
	v_mul_u32_u24_sdwa v57, v116, s8 dst_sel:DWORD dst_unused:UNUSED_PAD src0_sel:WORD_0 src1_sel:DWORD
	v_lshrrev_b32_e32 v104, 22, v57
	v_mul_lo_u16_e32 v57, 0x87, v104
	v_sub_u16_e32 v105, v116, v57
	v_lshlrev_b16_e32 v57, 4, v105
	v_add_co_u32_e32 v57, vcc, s10, v57
	v_addc_co_u32_e32 v58, vcc, 0, v117, vcc
	global_load_dwordx4 v[84:87], v[57:58], off offset:1040
	ds_read2_b64 v[57:60], v154 offset0:6 offset1:249
	ds_read2_b64 v[72:75], v158 offset0:2 offset1:245
	s_movk_i32 s8, 0x86
	v_cmp_lt_u16_e32 vcc, s8, v153
	s_movk_i32 s8, 0x195
	v_mad_legacy_u16 v63, v63, s8, v94
	s_movk_i32 s9, 0xff5e
	v_lshlrev_b32_e32 v108, 4, v108
	s_waitcnt vmcnt(4) lgkmcnt(1)
	v_mul_f32_e32 v62, v58, v91
	v_fma_f32 v62, v57, v90, -v62
	v_mul_f32_e32 v78, v57, v91
	s_waitcnt vmcnt(3)
	v_mul_f32_e32 v57, v60, v83
	v_fma_f32 v106, v59, v82, -v57
	v_mul_f32_e32 v107, v59, v83
	s_waitcnt lgkmcnt(0)
	v_mul_f32_e32 v57, v73, v81
	v_fmac_f32_e32 v78, v58, v90
	v_fmac_f32_e32 v107, v60, v82
	v_fma_f32 v109, v72, v80, -v57
	ds_read2_b64 v[57:60], v156 offset0:4 offset1:247
	v_mul_f32_e32 v110, v72, v81
	v_fmac_f32_e32 v110, v73, v80
	s_waitcnt vmcnt(2)
	v_mul_f32_e32 v72, v75, v97
	v_fma_f32 v111, v74, v96, -v72
	v_mul_f32_e32 v113, v74, v97
	s_waitcnt lgkmcnt(0)
	v_mul_f32_e32 v72, v58, v99
	v_fmac_f32_e32 v113, v75, v96
	v_fma_f32 v114, v57, v98, -v72
	ds_read2_b64 v[72:75], v157 offset0:8 offset1:251
	v_mul_f32_e32 v115, v57, v99
	s_waitcnt vmcnt(1)
	v_mul_f32_e32 v57, v60, v71
	v_fma_f32 v118, v59, v70, -v57
	v_mul_f32_e32 v119, v59, v71
	s_waitcnt lgkmcnt(0)
	v_mul_f32_e32 v57, v73, v69
	v_fma_f32 v178, v72, v68, -v57
	v_fmac_f32_e32 v115, v58, v98
	v_fmac_f32_e32 v119, v60, v70
	v_mul_f32_e32 v180, v72, v69
	s_waitcnt vmcnt(0)
	v_mul_f32_e32 v57, v75, v85
	v_fma_f32 v187, v74, v84, -v57
	v_mov_b32_e32 v72, 0x195
	ds_read2_b64 v[57:60], v155 offset0:12 offset1:255
	v_mul_f32_e32 v188, v74, v85
	v_cndmask_b32_e32 v72, 0, v72, vcc
	v_fmac_f32_e32 v180, v73, v68
	v_fmac_f32_e32 v188, v75, v84
	v_add_lshl_u32 v176, v61, v72, 3
	ds_read2_b64 v[72:75], v151 offset1:243
	s_waitcnt lgkmcnt(1)
	v_mul_f32_e32 v61, v60, v89
	v_fma_f32 v61, v59, v88, -v61
	v_mul_f32_e32 v59, v59, v89
	v_fmac_f32_e32 v59, v60, v88
	s_waitcnt lgkmcnt(0)
	v_add_f32_e32 v60, v72, v61
	v_add_f32_e32 v76, v60, v62
	;; [unrolled: 1-line block ×4, first 2 shown]
	v_sub_f32_e32 v173, v59, v78
	v_add_f32_e32 v59, v59, v78
	v_add_f32_e32 v60, v61, v62
	v_fma_f32 v72, -0.5, v60, v72
	v_fma_f32 v73, -0.5, v59, v73
	v_sub_f32_e32 v177, v61, v62
	v_mov_b32_e32 v78, v72
	v_mov_b32_e32 v79, v73
	ds_read_b64 v[92:93], v151 offset:27216
	ds_read2_b64 v[59:62], v159 offset0:6 offset1:249
	v_fmac_f32_e32 v78, 0x3f5db3d7, v173
	v_fmac_f32_e32 v79, 0xbf5db3d7, v177
	;; [unrolled: 1-line block ×4, first 2 shown]
	s_waitcnt lgkmcnt(0)
	s_barrier
	ds_write2_b64 v176, v[76:77], v[78:79] offset1:135
	ds_write_b64 v176, v[72:73] offset:2160
	v_add_f32_e32 v73, v109, v106
	v_add_f32_e32 v76, v110, v107
	;; [unrolled: 1-line block ×3, first 2 shown]
	v_fma_f32 v74, -0.5, v73, v74
	v_add_f32_e32 v73, v75, v110
	v_sub_f32_e32 v78, v110, v107
	v_fmac_f32_e32 v75, -0.5, v76
	v_sub_f32_e32 v79, v109, v106
	v_mov_b32_e32 v76, v74
	v_mov_b32_e32 v77, v75
	v_lshlrev_b32_e32 v173, 3, v63
	v_fmac_f32_e32 v74, 0xbf5db3d7, v78
	v_fmac_f32_e32 v75, 0x3f5db3d7, v79
	v_add_f32_e32 v72, v72, v106
	v_add_f32_e32 v73, v73, v107
	v_fmac_f32_e32 v76, 0x3f5db3d7, v78
	v_fmac_f32_e32 v77, 0xbf5db3d7, v79
	ds_write_b64 v173, v[74:75] offset:2160
	v_add_f32_e32 v63, v59, v111
	v_add_f32_e32 v74, v113, v115
	;; [unrolled: 1-line block ×3, first 2 shown]
	ds_write2_b64 v173, v[72:73], v[76:77] offset1:135
	v_add_f32_e32 v72, v63, v114
	v_add_f32_e32 v63, v60, v113
	v_fma_f32 v59, -0.5, v75, v59
	v_fma_f32 v60, -0.5, v74, v60
	v_add_f32_e32 v73, v63, v115
	v_sub_f32_e32 v63, v113, v115
	v_sub_f32_e32 v76, v111, v114
	v_mad_legacy_u16 v77, v95, s8, v101
	v_mov_b32_e32 v74, v59
	v_mov_b32_e32 v75, v60
	v_fmac_f32_e32 v74, 0x3f5db3d7, v63
	v_fmac_f32_e32 v75, 0xbf5db3d7, v76
	v_lshlrev_b32_e32 v177, 3, v77
	v_fmac_f32_e32 v59, 0xbf5db3d7, v63
	v_fmac_f32_e32 v60, 0x3f5db3d7, v76
	ds_write2_b64 v177, v[72:73], v[74:75] offset1:135
	ds_write_b64 v177, v[59:60] offset:2160
	v_add_f32_e32 v60, v178, v118
	v_add_f32_e32 v72, v180, v119
	;; [unrolled: 1-line block ×3, first 2 shown]
	v_fma_f32 v61, -0.5, v60, v61
	v_add_f32_e32 v60, v62, v180
	v_fmac_f32_e32 v62, -0.5, v72
	v_sub_f32_e32 v63, v180, v119
	v_sub_f32_e32 v74, v178, v118
	v_mad_legacy_u16 v75, v102, s8, v103
	v_mov_b32_e32 v72, v61
	v_mov_b32_e32 v73, v62
	v_add_f32_e32 v59, v59, v118
	v_add_f32_e32 v60, v60, v119
	v_fmac_f32_e32 v72, 0x3f5db3d7, v63
	v_fmac_f32_e32 v73, 0xbf5db3d7, v74
	v_lshlrev_b32_e32 v178, 3, v75
	ds_write2_b64 v178, v[59:60], v[72:73] offset1:135
	v_fmac_f32_e32 v61, 0xbf5db3d7, v63
	v_fmac_f32_e32 v62, 0x3f5db3d7, v74
	v_mul_f32_e32 v59, v93, v87
	ds_write_b64 v178, v[61:62] offset:2160
	v_fma_f32 v61, v92, v86, -v59
	v_mul_f32_e32 v62, v92, v87
	v_add_f32_e32 v60, v187, v61
	v_fmac_f32_e32 v62, v93, v86
	v_add_f32_e32 v59, v57, v187
	v_fma_f32 v57, -0.5, v60, v57
	v_add_f32_e32 v60, v58, v188
	v_add_f32_e32 v60, v60, v62
	v_sub_f32_e32 v63, v188, v62
	v_add_f32_e32 v62, v188, v62
	v_fmac_f32_e32 v58, -0.5, v62
	v_sub_f32_e32 v72, v187, v61
	v_mad_legacy_u16 v73, v104, s8, v105
	v_add_f32_e32 v59, v59, v61
	v_mov_b32_e32 v61, v57
	v_mov_b32_e32 v62, v58
	v_lshlrev_b32_e32 v180, 3, v73
	v_fmac_f32_e32 v57, 0xbf5db3d7, v63
	v_fmac_f32_e32 v58, 0x3f5db3d7, v72
	ds_write_b64 v180, v[57:58] offset:2160
	v_add_co_u32_e32 v57, vcc, s9, v153
	v_addc_co_u32_e64 v58, s[12:13], 0, -1, vcc
	v_cmp_gt_u16_e32 vcc, s14, v153
	v_cndmask_b32_e32 v110, v58, v56, vcc
	v_cndmask_b32_e32 v109, v57, v100, vcc
	v_lshlrev_b64 v[56:57], 4, v[109:110]
	s_movk_i32 s9, 0x43a3
	v_add_co_u32_e32 v56, vcc, s10, v56
	v_fmac_f32_e32 v61, 0x3f5db3d7, v63
	v_fmac_f32_e32 v62, 0xbf5db3d7, v72
	v_addc_co_u32_e32 v57, vcc, v117, v57, vcc
	v_lshlrev_b32_e32 v72, 4, v153
	v_mul_u32_u24_sdwa v73, v112, s9 dst_sel:DWORD dst_unused:UNUSED_PAD src0_sel:WORD_0 src1_sel:DWORD
	ds_write2_b64 v180, v[59:60], v[61:62] offset1:135
	s_waitcnt lgkmcnt(0)
	s_barrier
	global_load_dwordx4 v[56:59], v[56:57], off offset:3200
	s_nop 0
	global_load_dwordx4 v[60:63], v72, s[10:11] offset:3200
	v_sub_u16_sdwa v74, v112, v73 dst_sel:DWORD dst_unused:UNUSED_PAD src0_sel:DWORD src1_sel:WORD_1
	v_add_co_u32_e32 v107, vcc, s10, v72
	v_lshrrev_b16_e32 v74, 1, v74
	v_addc_co_u32_e32 v115, vcc, 0, v117, vcc
	v_add_u16_sdwa v74, v74, v73 dst_sel:DWORD dst_unused:UNUSED_PAD src0_sel:DWORD src1_sel:WORD_1
	v_add_co_u32_e32 v72, vcc, s7, v107
	v_addc_co_u32_e32 v73, vcc, 0, v115, vcc
	v_lshrrev_b16_e32 v191, 8, v74
	v_mul_u32_u24_sdwa v92, v116, s9 dst_sel:DWORD dst_unused:UNUSED_PAD src0_sel:WORD_0 src1_sel:DWORD
	v_mul_lo_u16_e32 v74, 0x195, v191
	global_load_dwordx4 v[76:79], v[72:73], off offset:400
	v_sub_u16_sdwa v93, v116, v92 dst_sel:DWORD dst_unused:UNUSED_PAD src0_sel:DWORD src1_sel:WORD_1
	v_sub_u16_e32 v192, v112, v74
	v_lshrrev_b16_e32 v93, 1, v93
	v_lshlrev_b16_e32 v74, 4, v192
	v_add_u16_sdwa v92, v93, v92 dst_sel:DWORD dst_unused:UNUSED_PAD src0_sel:DWORD src1_sel:WORD_1
	v_add_co_u32_e32 v72, vcc, s10, v74
	v_mul_lo_u16_sdwa v92, v92, s8 dst_sel:DWORD dst_unused:UNUSED_PAD src0_sel:BYTE_1 src1_sel:DWORD
	v_addc_co_u32_e32 v73, vcc, 0, v117, vcc
	v_sub_u16_e32 v193, v116, v92
	global_load_dwordx4 v[72:75], v[72:73], off offset:3200
	v_lshlrev_b16_e32 v92, 4, v193
	v_add_co_u32_e32 v92, vcc, s10, v92
	v_addc_co_u32_e32 v93, vcc, 0, v117, vcc
	global_load_dwordx4 v[92:95], v[92:93], off offset:3200
	ds_read2_b64 v[101:104], v154 offset0:6 offset1:249
	ds_read2_b64 v[187:190], v158 offset0:2 offset1:245
	s_movk_i32 s7, 0xa1
	v_cmp_lt_u16_e32 vcc, s7, v153
	s_movk_i32 s7, 0x4bf
	v_lshlrev_b32_e32 v100, 4, v100
	v_lshlrev_b32_e32 v112, 4, v112
	;; [unrolled: 1-line block ×3, first 2 shown]
	s_waitcnt vmcnt(4) lgkmcnt(1)
	v_mul_f32_e32 v195, v103, v59
	s_waitcnt vmcnt(3)
	v_mul_f32_e32 v105, v102, v63
	v_fma_f32 v118, v101, v62, -v105
	v_mul_f32_e32 v119, v101, v63
	v_mul_f32_e32 v101, v104, v59
	v_fma_f32 v194, v103, v58, -v101
	s_waitcnt lgkmcnt(0)
	v_mul_f32_e32 v101, v188, v57
	v_fmac_f32_e32 v119, v102, v62
	v_fmac_f32_e32 v195, v104, v58
	v_fma_f32 v196, v187, v56, -v101
	ds_read2_b64 v[101:104], v156 offset0:4 offset1:247
	v_mul_f32_e32 v197, v187, v57
	v_fmac_f32_e32 v197, v188, v56
	s_waitcnt vmcnt(2)
	v_mul_f32_e32 v105, v190, v77
	v_mul_f32_e32 v199, v189, v77
	v_fma_f32 v198, v189, v76, -v105
	v_fmac_f32_e32 v199, v190, v76
	ds_read2_b64 v[187:190], v157 offset0:8 offset1:251
	s_waitcnt lgkmcnt(1)
	v_mul_f32_e32 v105, v102, v79
	v_fma_f32 v200, v101, v78, -v105
	v_mul_f32_e32 v201, v101, v79
	v_fmac_f32_e32 v201, v102, v78
	s_waitcnt vmcnt(1)
	v_mul_f32_e32 v101, v104, v75
	v_fma_f32 v202, v103, v74, -v101
	v_mul_f32_e32 v203, v103, v75
	s_waitcnt lgkmcnt(0)
	v_mul_f32_e32 v101, v188, v73
	v_fmac_f32_e32 v203, v104, v74
	v_fma_f32 v204, v187, v72, -v101
	ds_read2_b64 v[101:104], v155 offset0:12 offset1:255
	v_mul_f32_e32 v205, v187, v73
	s_waitcnt vmcnt(0)
	v_mul_f32_e32 v105, v190, v93
	v_mul_f32_e32 v207, v189, v93
	v_fmac_f32_e32 v205, v188, v72
	v_fma_f32 v206, v189, v92, -v105
	v_fmac_f32_e32 v207, v190, v92
	ds_read2_b64 v[187:190], v151 offset1:243
	s_waitcnt lgkmcnt(1)
	v_mul_f32_e32 v105, v104, v61
	v_fma_f32 v208, v103, v60, -v105
	v_mul_f32_e32 v209, v103, v61
	v_fmac_f32_e32 v209, v104, v60
	s_waitcnt lgkmcnt(0)
	v_add_f32_e32 v103, v187, v208
	v_add_f32_e32 v110, v103, v118
	;; [unrolled: 1-line block ×4, first 2 shown]
	ds_read_b64 v[113:114], v151 offset:27216
	ds_read2_b64 v[103:106], v159 offset0:6 offset1:249
	s_waitcnt lgkmcnt(0)
	s_barrier
	ds_write_b64 v151, v[110:111]
	v_add_f32_e32 v111, v209, v119
	v_add_f32_e32 v110, v208, v118
	v_sub_f32_e32 v210, v209, v119
	v_fma_f32 v110, -0.5, v110, v187
	v_fma_f32 v111, -0.5, v111, v188
	v_sub_f32_e32 v187, v208, v118
	v_mov_b32_e32 v118, v110
	v_mov_b32_e32 v119, v111
	v_fmac_f32_e32 v110, 0xbf5db3d7, v210
	v_fmac_f32_e32 v111, 0x3f5db3d7, v187
	ds_write_b64 v151, v[110:111] offset:6480
	v_mov_b32_e32 v110, 0x4bf
	v_cndmask_b32_e32 v110, 0, v110, vcc
	v_fmac_f32_e32 v119, 0xbf5db3d7, v187
	v_add_lshl_u32 v187, v109, v110, 3
	v_add_f32_e32 v109, v196, v194
	v_fmac_f32_e32 v118, 0x3f5db3d7, v210
	v_add_f32_e32 v111, v189, v196
	v_fma_f32 v189, -0.5, v109, v189
	v_add_f32_e32 v109, v197, v195
	ds_write_b64 v151, v[118:119] offset:3240
	v_add_f32_e32 v119, v190, v197
	v_fmac_f32_e32 v190, -0.5, v109
	v_sub_f32_e32 v188, v197, v195
	v_mov_b32_e32 v109, v189
	v_sub_f32_e32 v196, v196, v194
	v_mov_b32_e32 v110, v190
	v_fmac_f32_e32 v109, 0x3f5db3d7, v188
	v_fmac_f32_e32 v110, 0xbf5db3d7, v196
	ds_write_b64 v187, v[109:110] offset:3240
	v_add_f32_e32 v109, v103, v198
	v_add_f32_e32 v110, v104, v199
	v_fmac_f32_e32 v189, 0xbf5db3d7, v188
	v_fmac_f32_e32 v190, 0x3f5db3d7, v196
	v_add_f32_e32 v118, v111, v194
	v_add_f32_e32 v119, v119, v195
	;; [unrolled: 1-line block ×4, first 2 shown]
	ds_write_b64 v187, v[189:190] offset:6480
	ds_write_b64 v187, v[118:119]
	ds_write_b64 v151, v[109:110] offset:10368
	v_add_f32_e32 v109, v199, v201
	v_add_f32_e32 v110, v198, v200
	v_sub_f32_e32 v111, v199, v201
	v_fma_f32 v103, -0.5, v110, v103
	v_fma_f32 v104, -0.5, v109, v104
	v_sub_f32_e32 v118, v198, v200
	v_mov_b32_e32 v109, v103
	v_mov_b32_e32 v110, v104
	v_fmac_f32_e32 v103, 0xbf5db3d7, v111
	v_fmac_f32_e32 v104, 0x3f5db3d7, v118
	v_fmac_f32_e32 v109, 0x3f5db3d7, v111
	v_fmac_f32_e32 v110, 0xbf5db3d7, v118
	ds_write_b64 v151, v[103:104] offset:16848
	v_add_f32_e32 v103, v204, v202
	ds_write_b64 v151, v[109:110] offset:13608
	v_add_f32_e32 v109, v105, v204
	v_fma_f32 v105, -0.5, v103, v105
	v_add_f32_e32 v103, v205, v203
	v_add_f32_e32 v110, v106, v205
	v_fmac_f32_e32 v106, -0.5, v103
	v_mad_legacy_u16 v111, v191, s7, v192
	v_sub_f32_e32 v118, v205, v203
	v_sub_f32_e32 v119, v204, v202
	v_mov_b32_e32 v103, v105
	v_fmac_f32_e32 v105, 0xbf5db3d7, v118
	v_mov_b32_e32 v104, v106
	v_fmac_f32_e32 v106, 0x3f5db3d7, v119
	v_lshlrev_b32_e32 v188, 3, v111
	ds_write_b64 v188, v[105:106] offset:6480
	v_mul_f32_e32 v105, v114, v95
	v_fma_f32 v111, v113, v94, -v105
	v_mul_f32_e32 v113, v113, v95
	v_fmac_f32_e32 v103, 0x3f5db3d7, v118
	v_fmac_f32_e32 v104, 0xbf5db3d7, v119
	;; [unrolled: 1-line block ×3, first 2 shown]
	v_add_f32_e32 v105, v109, v202
	v_add_f32_e32 v106, v110, v203
	ds_write_b64 v188, v[103:104] offset:3240
	v_add_f32_e32 v103, v206, v111
	ds_write_b64 v188, v[105:106]
	v_add_f32_e32 v105, v101, v206
	v_fma_f32 v101, -0.5, v103, v101
	v_add_f32_e32 v103, v207, v113
	v_add_f32_e32 v106, v102, v207
	v_fmac_f32_e32 v102, -0.5, v103
	v_sub_f32_e32 v109, v207, v113
	v_sub_f32_e32 v110, v206, v111
	v_mov_b32_e32 v103, v101
	v_fmac_f32_e32 v101, 0xbf5db3d7, v109
	v_mov_b32_e32 v104, v102
	v_fmac_f32_e32 v102, 0x3f5db3d7, v110
	v_lshlrev_b32_e32 v189, 3, v193
	ds_write_b64 v189, v[101:102] offset:25920
	v_add_f32_e32 v101, v105, v111
	v_add_f32_e32 v102, v106, v113
	ds_write_b64 v189, v[101:102] offset:19440
	v_add_co_u32_e32 v101, vcc, s6, v107
	v_fmac_f32_e32 v103, 0x3f5db3d7, v109
	v_fmac_f32_e32 v104, 0xbf5db3d7, v110
	v_addc_co_u32_e32 v102, vcc, 0, v115, vcc
	ds_write_b64 v189, v[103:104] offset:22680
	s_waitcnt lgkmcnt(0)
	s_barrier
	global_load_dwordx4 v[104:107], v[101:102], off offset:1488
	v_add_co_u32_e32 v100, vcc, s10, v100
	v_addc_co_u32_e32 v101, vcc, 0, v117, vcc
	v_add_co_u32_e32 v100, vcc, s6, v100
	v_addc_co_u32_e32 v101, vcc, 0, v101, vcc
	v_add_co_u32_e32 v108, vcc, s10, v108
	global_load_dwordx4 v[100:103], v[100:101], off offset:1488
	v_addc_co_u32_e32 v109, vcc, 0, v117, vcc
	v_add_co_u32_e32 v108, vcc, s6, v108
	v_addc_co_u32_e32 v109, vcc, 0, v109, vcc
	global_load_dwordx4 v[108:111], v[108:109], off offset:1488
	ds_read2_b64 v[190:193], v154 offset0:6 offset1:249
	v_add_co_u32_e32 v112, vcc, s10, v112
	ds_read2_b64 v[194:197], v158 offset0:2 offset1:245
	s_mov_b32 s7, 0x9000
	s_waitcnt vmcnt(2) lgkmcnt(1)
	v_mul_f32_e32 v113, v191, v107
	v_fma_f32 v199, v190, v106, -v113
	v_addc_co_u32_e32 v113, vcc, 0, v117, vcc
	v_add_co_u32_e32 v112, vcc, s6, v112
	v_addc_co_u32_e32 v113, vcc, 0, v113, vcc
	v_add_co_u32_e32 v116, vcc, s10, v116
	v_addc_co_u32_e32 v117, vcc, 0, v117, vcc
	global_load_dwordx4 v[112:115], v[112:113], off offset:1488
	v_add_co_u32_e32 v116, vcc, s6, v116
	v_addc_co_u32_e32 v117, vcc, 0, v117, vcc
	global_load_dwordx4 v[116:119], v[116:117], off offset:1488
	v_mul_f32_e32 v190, v190, v107
	v_fmac_f32_e32 v190, v191, v106
	s_waitcnt vmcnt(3)
	v_mul_f32_e32 v191, v193, v103
	v_fma_f32 v213, v192, v102, -v191
	v_mul_f32_e32 v214, v192, v103
	s_waitcnt lgkmcnt(0)
	v_mul_f32_e32 v191, v195, v101
	v_fmac_f32_e32 v214, v193, v102
	v_fma_f32 v215, v194, v100, -v191
	v_mul_f32_e32 v216, v194, v101
	ds_read2_b64 v[191:194], v155 offset0:12 offset1:255
	v_fmac_f32_e32 v216, v195, v100
	s_waitcnt vmcnt(2)
	v_mul_f32_e32 v195, v197, v109
	v_mul_f32_e32 v218, v196, v109
	v_fma_f32 v217, v196, v108, -v195
	v_fmac_f32_e32 v218, v197, v108
	ds_read2_b64 v[195:198], v151 offset1:243
	s_waitcnt lgkmcnt(1)
	v_mul_f32_e32 v200, v194, v105
	v_fma_f32 v200, v193, v104, -v200
	v_mul_f32_e32 v193, v193, v105
	v_fmac_f32_e32 v193, v194, v104
	s_waitcnt lgkmcnt(0)
	v_add_f32_e32 v194, v195, v200
	v_add_f32_e32 v207, v194, v199
	;; [unrolled: 1-line block ×4, first 2 shown]
	v_sub_f32_e32 v219, v193, v190
	v_add_f32_e32 v190, v193, v190
	v_add_f32_e32 v193, v200, v199
	v_fma_f32 v210, -0.5, v190, v196
	v_fma_f32 v209, -0.5, v193, v195
	v_sub_f32_e32 v190, v200, v199
	v_mov_b32_e32 v212, v210
	v_mov_b32_e32 v211, v209
	v_fmac_f32_e32 v212, 0xbf5db3d7, v190
	ds_read2_b64 v[193:196], v159 offset0:6 offset1:249
	ds_read2_b64 v[199:202], v156 offset0:4 offset1:247
	;; [unrolled: 1-line block ×3, first 2 shown]
	v_fmac_f32_e32 v209, 0xbf5db3d7, v219
	v_fmac_f32_e32 v210, 0x3f5db3d7, v190
	v_add_f32_e32 v190, v197, v215
	ds_write_b64 v151, v[209:210] offset:19440
	v_add_f32_e32 v209, v190, v213
	v_add_f32_e32 v190, v198, v216
	;; [unrolled: 1-line block ×4, first 2 shown]
	v_fma_f32 v197, -0.5, v190, v197
	v_add_f32_e32 v190, v216, v214
	v_fmac_f32_e32 v198, -0.5, v190
	s_waitcnt lgkmcnt(2)
	v_mul_f32_e32 v190, v200, v111
	v_fmac_f32_e32 v211, 0x3f5db3d7, v219
	v_sub_f32_e32 v219, v216, v214
	v_sub_f32_e32 v213, v215, v213
	v_fma_f32 v214, v199, v110, -v190
	v_mul_f32_e32 v215, v199, v111
	v_fmac_f32_e32 v215, v200, v110
	v_add_f32_e32 v190, v217, v214
	v_fma_f32 v199, -0.5, v190, v193
	v_add_f32_e32 v190, v218, v215
	v_fma_f32 v200, -0.5, v190, v194
	v_sub_f32_e32 v216, v218, v215
	v_sub_f32_e32 v220, v217, v214
	ds_write_b64 v151, v[211:212] offset:9720
	ds_read_b64 v[211:212], v151 offset:27216
	ds_write2_b64 v151, v[207:208], v[209:210] offset1:243
	v_mov_b32_e32 v207, v197
	v_fmac_f32_e32 v197, 0xbf5db3d7, v219
	v_mov_b32_e32 v208, v198
	v_fmac_f32_e32 v198, 0x3f5db3d7, v213
	;; [unrolled: 2-line block ×4, first 2 shown]
	v_add_u32_e32 v190, 0x5380, v151
	ds_write2_b64 v190, v[197:198], v[199:200] offset0:1 offset1:244
	v_add_f32_e32 v193, v193, v217
	v_add_f32_e32 v194, v194, v218
	v_fmac_f32_e32 v207, 0x3f5db3d7, v219
	s_waitcnt vmcnt(1)
	v_mul_f32_e32 v197, v202, v115
	v_mul_f32_e32 v200, v201, v115
	v_fma_f32 v199, v201, v114, -v197
	v_fmac_f32_e32 v200, v202, v114
	s_waitcnt lgkmcnt(5)
	v_mul_f32_e32 v197, v204, v113
	v_mul_f32_e32 v202, v203, v113
	v_fma_f32 v201, v203, v112, -v197
	v_fmac_f32_e32 v202, v204, v112
	s_waitcnt vmcnt(0)
	v_mul_f32_e32 v197, v206, v117
	v_fma_f32 v203, v205, v116, -v197
	v_add_f32_e32 v197, v195, v201
	v_add_f32_e32 v198, v196, v202
	v_fmac_f32_e32 v208, 0xbf5db3d7, v213
	v_fmac_f32_e32 v209, 0x3f5db3d7, v216
	;; [unrolled: 1-line block ×3, first 2 shown]
	v_add_f32_e32 v193, v193, v214
	v_add_f32_e32 v194, v194, v215
	v_add_f32_e32 v197, v197, v199
	v_add_f32_e32 v198, v198, v200
	ds_write2_b64 v158, v[207:208], v[209:210] offset0:2 offset1:245
	ds_write2_b64 v159, v[193:194], v[197:198] offset0:6 offset1:249
	v_add_f32_e32 v193, v201, v199
	v_fma_f32 v195, -0.5, v193, v195
	v_add_f32_e32 v193, v202, v200
	v_sub_f32_e32 v197, v202, v200
	v_fmac_f32_e32 v196, -0.5, v193
	v_sub_f32_e32 v198, v201, v199
	v_mul_f32_e32 v204, v205, v117
	v_mov_b32_e32 v193, v195
	v_fmac_f32_e32 v195, 0xbf5db3d7, v197
	v_mov_b32_e32 v194, v196
	v_fmac_f32_e32 v196, 0x3f5db3d7, v198
	v_fmac_f32_e32 v204, v206, v116
	ds_write_b64 v151, v[195:196] offset:25272
	s_waitcnt lgkmcnt(5)
	v_mul_f32_e32 v195, v212, v119
	v_mul_f32_e32 v200, v211, v119
	v_fma_f32 v199, v211, v118, -v195
	v_fmac_f32_e32 v200, v212, v118
	v_add_f32_e32 v195, v191, v203
	v_add_f32_e32 v196, v192, v204
	;; [unrolled: 1-line block ×4, first 2 shown]
	ds_write_b64 v151, v[195:196] offset:7776
	v_add_f32_e32 v195, v203, v199
	v_fma_f32 v191, -0.5, v195, v191
	v_add_f32_e32 v195, v204, v200
	v_fmac_f32_e32 v192, -0.5, v195
	v_fmac_f32_e32 v193, 0x3f5db3d7, v197
	v_fmac_f32_e32 v194, 0xbf5db3d7, v198
	v_sub_f32_e32 v197, v204, v200
	v_sub_f32_e32 v198, v203, v199
	v_mov_b32_e32 v195, v191
	v_mov_b32_e32 v196, v192
	v_fmac_f32_e32 v195, 0x3f5db3d7, v197
	v_fmac_f32_e32 v196, 0xbf5db3d7, v198
	;; [unrolled: 1-line block ×4, first 2 shown]
	s_movk_i32 s6, 0x7000
	ds_write2_b64 v157, v[193:194], v[195:196] offset0:8 offset1:251
	ds_write_b64 v151, v[191:192] offset:27216
	v_add_co_u32_e32 v191, vcc, s6, v160
	v_addc_co_u32_e32 v192, vcc, 0, v161, vcc
	s_waitcnt lgkmcnt(0)
	s_barrier
	global_load_dwordx2 v[195:196], v[191:192], off offset:488
	s_movk_i32 s6, 0x71e8
	v_add_co_u32_e32 v191, vcc, s6, v160
	v_addc_co_u32_e32 v192, vcc, 0, v161, vcc
	v_add_co_u32_e32 v193, vcc, s7, v160
	global_load_dwordx2 v[199:200], v[191:192], off offset:1944
	v_addc_co_u32_e32 v194, vcc, 0, v161, vcc
	global_load_dwordx2 v[201:202], v[193:194], off offset:3960
	s_mov_b32 s7, 0xa000
	v_add_co_u32_e32 v197, vcc, s7, v160
	v_addc_co_u32_e32 v198, vcc, 0, v161, vcc
	global_load_dwordx2 v[203:204], v[197:198], off offset:1808
	s_mov_b32 s7, 0xc000
	v_add_co_u32_e32 v205, vcc, s7, v160
	;; [unrolled: 4-line block ×3, first 2 shown]
	s_mov_b32 s6, 0x8000
	v_addc_co_u32_e32 v210, vcc, 0, v161, vcc
	global_load_dwordx2 v[211:212], v[209:210], off offset:1184
	v_add_co_u32_e32 v213, vcc, s6, v160
	v_addc_co_u32_e32 v214, vcc, 0, v161, vcc
	global_load_dwordx2 v[213:214], v[213:214], off offset:2224
	s_nop 0
	global_load_dwordx2 v[215:216], v[191:192], off offset:3888
	global_load_dwordx2 v[217:218], v[193:194], off offset:72
	s_mov_b32 s6, 0xb000
	v_add_co_u32_e32 v160, vcc, s6, v160
	v_addc_co_u32_e32 v161, vcc, 0, v161, vcc
	global_load_dwordx2 v[219:220], v[160:161], off offset:1600
	global_load_dwordx2 v[221:222], v[193:194], off offset:2016
	s_nop 0
	global_load_dwordx2 v[209:210], v[209:210], off offset:3128
	s_nop 0
	;; [unrolled: 2-line block ×4, first 2 shown]
	global_load_dwordx2 v[205:206], v[205:206], off offset:1392
	ds_read2_b64 v[191:194], v151 offset1:243
	s_waitcnt vmcnt(14) lgkmcnt(0)
	v_mul_f32_e32 v197, v192, v196
	v_mul_f32_e32 v198, v191, v196
	v_fma_f32 v197, v191, v195, -v197
	v_fmac_f32_e32 v198, v192, v195
	ds_write_b64 v151, v[197:198]
	ds_read2_b64 v[195:198], v158 offset0:2 offset1:245
	s_waitcnt vmcnt(13)
	v_mul_f32_e32 v191, v194, v200
	v_fma_f32 v225, v193, v199, -v191
	v_mul_f32_e32 v226, v193, v200
	s_waitcnt vmcnt(12) lgkmcnt(0)
	v_mul_f32_e32 v191, v196, v202
	v_fmac_f32_e32 v226, v194, v199
	v_fma_f32 v199, v195, v201, -v191
	ds_read2_b64 v[191:194], v156 offset0:4 offset1:247
	v_mul_f32_e32 v200, v195, v202
	v_fmac_f32_e32 v200, v196, v201
	s_waitcnt vmcnt(11)
	v_mul_f32_e32 v195, v198, v204
	v_fma_f32 v201, v197, v203, -v195
	v_mul_f32_e32 v202, v197, v204
	v_fmac_f32_e32 v202, v198, v203
	s_waitcnt vmcnt(10) lgkmcnt(0)
	v_mul_f32_e32 v195, v192, v208
	v_fma_f32 v203, v191, v207, -v195
	ds_read2_b64 v[195:198], v159 offset0:6 offset1:249
	v_mul_f32_e32 v204, v191, v208
	v_fmac_f32_e32 v204, v192, v207
	s_waitcnt vmcnt(9)
	v_mul_f32_e32 v191, v194, v212
	v_fma_f32 v207, v193, v211, -v191
	v_mul_f32_e32 v208, v193, v212
	v_fmac_f32_e32 v208, v194, v211
	s_waitcnt vmcnt(8) lgkmcnt(0)
	v_mul_f32_e32 v191, v198, v214
	v_fma_f32 v211, v197, v213, -v191
	ds_read2_b64 v[191:194], v155 offset0:12 offset1:255
	v_mul_f32_e32 v212, v197, v214
	s_waitcnt vmcnt(7)
	v_mul_f32_e32 v197, v196, v216
	v_fmac_f32_e32 v212, v198, v213
	v_fma_f32 v213, v195, v215, -v197
	v_mul_f32_e32 v214, v195, v216
	s_waitcnt vmcnt(6) lgkmcnt(0)
	v_mul_f32_e32 v195, v192, v218
	v_fmac_f32_e32 v214, v196, v215
	v_fma_f32 v215, v191, v217, -v195
	ds_read2_b64 v[195:198], v157 offset0:8 offset1:251
	v_mul_f32_e32 v216, v191, v218
	s_waitcnt vmcnt(4)
	v_mul_f32_e32 v191, v194, v222
	v_fmac_f32_e32 v216, v192, v217
	v_fma_f32 v217, v193, v221, -v191
	v_mul_f32_e32 v218, v193, v222
	s_waitcnt lgkmcnt(0)
	v_mul_f32_e32 v191, v198, v220
	v_fmac_f32_e32 v218, v194, v221
	v_fma_f32 v221, v197, v219, -v191
	ds_read2_b64 v[191:194], v154 offset0:6 offset1:249
	v_mul_f32_e32 v222, v197, v220
	s_waitcnt vmcnt(2)
	v_mul_f32_e32 v197, v196, v224
	v_fmac_f32_e32 v222, v198, v219
	v_fma_f32 v197, v195, v223, -v197
	v_mul_f32_e32 v198, v195, v224
	s_waitcnt vmcnt(1) lgkmcnt(0)
	v_mul_f32_e32 v195, v192, v161
	v_fmac_f32_e32 v198, v196, v223
	v_fma_f32 v195, v191, v160, -v195
	v_mul_f32_e32 v196, v191, v161
	v_add_u32_e32 v191, 0x1680, v151
	v_fmac_f32_e32 v196, v192, v160
	ds_write2_b64 v191, v[211:212], v[215:216] offset0:9 offset1:252
	v_add_u32_e32 v191, 0x4400, v151
	ds_write2_b64 v191, v[221:222], v[195:196] offset0:11 offset1:254
	ds_read_b64 v[191:192], v151 offset:27216
	s_waitcnt vmcnt(0)
	v_mul_f32_e32 v160, v194, v206
	v_fma_f32 v160, v193, v205, -v160
	v_mul_f32_e32 v161, v193, v206
	v_add_u32_e32 v193, 0x780, v151
	ds_write2_b64 v193, v[225:226], v[213:214] offset0:3 offset1:246
	v_add_u32_e32 v193, 0x25c0, v151
	v_fmac_f32_e32 v161, v194, v205
	ds_write2_b64 v193, v[217:218], v[199:200] offset0:7 offset1:250
	ds_write2_b64 v179, v[201:202], v[197:198] offset0:5 offset1:248
	s_waitcnt lgkmcnt(3)
	v_mul_f32_e32 v179, v192, v210
	v_mul_f32_e32 v194, v191, v210
	v_fma_f32 v193, v191, v209, -v179
	v_fmac_f32_e32 v194, v192, v209
	ds_write2_b64 v181, v[207:208], v[193:194] offset0:7 offset1:250
	ds_write2_b64 v190, v[160:161], v[203:204] offset0:1 offset1:244
	s_waitcnt lgkmcnt(0)
	s_barrier
	ds_read2_b64 v[191:194], v159 offset0:6 offset1:249
	ds_read2_b64 v[195:198], v158 offset0:2 offset1:245
	;; [unrolled: 1-line block ×4, first 2 shown]
	ds_read2_b64 v[207:210], v151 offset1:243
	s_waitcnt lgkmcnt(3)
	v_sub_f32_e32 v160, v193, v195
	s_waitcnt lgkmcnt(2)
	v_add_f32_e32 v181, v195, v201
	s_waitcnt lgkmcnt(1)
	v_sub_f32_e32 v161, v203, v201
	s_waitcnt lgkmcnt(0)
	v_fma_f32 v219, -0.5, v181, v207
	v_add_f32_e32 v181, v196, v202
	v_fma_f32 v220, -0.5, v181, v208
	v_add_f32_e32 v179, v160, v161
	v_add_f32_e32 v160, v207, v193
	;; [unrolled: 1-line block ×3, first 2 shown]
	v_sub_f32_e32 v225, v194, v204
	v_mov_b32_e32 v221, v219
	v_mov_b32_e32 v222, v220
	v_sub_f32_e32 v227, v193, v203
	v_add_f32_e32 v160, v160, v195
	v_add_f32_e32 v161, v161, v196
	v_sub_f32_e32 v181, v194, v196
	v_sub_f32_e32 v211, v204, v202
	v_fmac_f32_e32 v221, 0xbf737871, v225
	v_sub_f32_e32 v226, v196, v202
	v_fmac_f32_e32 v222, 0x3f737871, v227
	v_sub_f32_e32 v228, v195, v201
	v_add_f32_e32 v160, v160, v201
	v_add_f32_e32 v161, v161, v202
	;; [unrolled: 1-line block ×3, first 2 shown]
	v_fmac_f32_e32 v221, 0xbf167918, v226
	v_fmac_f32_e32 v222, 0x3f167918, v228
	v_add_f32_e32 v160, v160, v203
	v_add_f32_e32 v161, v161, v204
	v_fmac_f32_e32 v221, 0x3e9e377a, v179
	v_fmac_f32_e32 v222, 0x3e9e377a, v181
	ds_read_b64 v[223:224], v151 offset:27216
	ds_read2_b64 v[211:214], v155 offset0:12 offset1:255
	ds_read2_b64 v[215:218], v154 offset0:6 offset1:249
	s_waitcnt lgkmcnt(0)
	s_barrier
	ds_write2_b64 v172, v[160:161], v[221:222] offset1:1
	v_sub_f32_e32 v160, v195, v193
	v_sub_f32_e32 v161, v201, v203
	v_add_f32_e32 v161, v160, v161
	v_add_f32_e32 v160, v193, v203
	v_fma_f32 v160, -0.5, v160, v207
	v_mov_b32_e32 v193, v160
	v_fmac_f32_e32 v193, 0x3f737871, v226
	v_fmac_f32_e32 v160, 0xbf737871, v226
	;; [unrolled: 1-line block ×6, first 2 shown]
	v_add_f32_e32 v161, v194, v204
	v_fma_f32 v161, -0.5, v161, v208
	v_sub_f32_e32 v194, v196, v194
	v_sub_f32_e32 v195, v202, v204
	v_add_f32_e32 v195, v194, v195
	v_mov_b32_e32 v194, v161
	v_fmac_f32_e32 v194, 0xbf737871, v228
	v_fmac_f32_e32 v161, 0x3f737871, v228
	;; [unrolled: 1-line block ×10, first 2 shown]
	ds_write2_b64 v172, v[193:194], v[160:161] offset0:2 offset1:3
	v_fmac_f32_e32 v219, 0x3e9e377a, v179
	v_fmac_f32_e32 v220, 0x3e9e377a, v181
	v_add_f32_e32 v160, v197, v215
	v_add_f32_e32 v161, v211, v205
	ds_write_b64 v172, v[219:220] offset:32
	v_add_f32_e32 v172, v209, v211
	v_fma_f32 v160, -0.5, v160, v209
	v_fma_f32 v209, -0.5, v161, v209
	v_sub_f32_e32 v161, v197, v211
	v_sub_f32_e32 v179, v215, v205
	v_add_f32_e32 v161, v161, v179
	v_sub_f32_e32 v179, v198, v216
	v_mov_b32_e32 v193, v209
	v_fmac_f32_e32 v193, 0x3f737871, v179
	v_sub_f32_e32 v181, v212, v206
	v_fmac_f32_e32 v209, 0xbf737871, v179
	v_fmac_f32_e32 v193, 0xbf167918, v181
	v_fmac_f32_e32 v209, 0x3f167918, v181
	v_fmac_f32_e32 v193, 0x3e9e377a, v161
	v_fmac_f32_e32 v209, 0x3e9e377a, v161
	v_add_f32_e32 v161, v198, v216
	v_add_f32_e32 v194, v212, v206
	v_fma_f32 v161, -0.5, v161, v210
	v_add_f32_e32 v195, v210, v212
	v_fmac_f32_e32 v210, -0.5, v194
	v_sub_f32_e32 v194, v198, v212
	v_sub_f32_e32 v196, v216, v206
	v_add_f32_e32 v196, v194, v196
	v_mov_b32_e32 v194, v210
	v_sub_f32_e32 v201, v197, v215
	v_fmac_f32_e32 v194, 0xbf737871, v201
	v_sub_f32_e32 v202, v211, v205
	v_fmac_f32_e32 v210, 0x3f737871, v201
	v_fmac_f32_e32 v194, 0x3f167918, v202
	;; [unrolled: 1-line block ×5, first 2 shown]
	v_add_f32_e32 v172, v172, v197
	ds_write2_b64 v168, v[193:194], v[209:210] offset0:2 offset1:3
	v_add_f32_e32 v193, v195, v198
	v_add_f32_e32 v172, v172, v215
	v_sub_f32_e32 v195, v211, v197
	v_sub_f32_e32 v196, v212, v198
	v_add_f32_e32 v194, v193, v216
	v_add_f32_e32 v193, v172, v205
	v_sub_f32_e32 v172, v205, v215
	v_sub_f32_e32 v197, v206, v216
	v_add_f32_e32 v172, v195, v172
	v_add_f32_e32 v197, v196, v197
	v_mov_b32_e32 v195, v160
	v_mov_b32_e32 v196, v161
	v_fmac_f32_e32 v195, 0xbf737871, v181
	v_fmac_f32_e32 v196, 0x3f737871, v202
	;; [unrolled: 1-line block ×6, first 2 shown]
	v_add_f32_e32 v194, v194, v206
	v_fmac_f32_e32 v195, 0x3e9e377a, v172
	v_fmac_f32_e32 v196, 0x3e9e377a, v197
	;; [unrolled: 1-line block ×4, first 2 shown]
	ds_write2_b64 v168, v[193:194], v[195:196] offset1:1
	v_add_f32_e32 v195, v199, v217
	v_add_f32_e32 v204, v200, v218
	v_fmac_f32_e32 v160, 0x3e9e377a, v172
	v_fmac_f32_e32 v161, 0x3e9e377a, v197
	v_sub_f32_e32 v196, v213, v199
	v_sub_f32_e32 v210, v223, v217
	ds_write_b64 v168, v[160:161] offset:32
	v_fma_f32 v160, -0.5, v195, v191
	v_fma_f32 v161, -0.5, v204, v192
	v_add_f32_e32 v193, v191, v213
	v_add_f32_e32 v194, v192, v214
	v_sub_f32_e32 v206, v214, v224
	v_sub_f32_e32 v208, v213, v223
	v_add_f32_e32 v168, v196, v210
	v_mov_b32_e32 v195, v160
	v_mov_b32_e32 v196, v161
	v_add_f32_e32 v193, v193, v199
	v_add_f32_e32 v194, v194, v200
	v_sub_f32_e32 v198, v200, v218
	v_sub_f32_e32 v203, v199, v213
	;; [unrolled: 1-line block ×5, first 2 shown]
	v_fmac_f32_e32 v195, 0xbf737871, v206
	v_fmac_f32_e32 v196, 0x3f737871, v208
	v_add_f32_e32 v209, v214, v224
	v_add_f32_e32 v193, v193, v217
	;; [unrolled: 1-line block ×4, first 2 shown]
	v_fmac_f32_e32 v195, 0xbf167918, v198
	v_fmac_f32_e32 v196, 0x3f167918, v199
	v_add_f32_e32 v193, v193, v223
	v_add_f32_e32 v194, v194, v224
	v_fmac_f32_e32 v195, 0x3e9e377a, v168
	v_fmac_f32_e32 v196, 0x3e9e377a, v172
	v_fmac_f32_e32 v192, -0.5, v209
	v_sub_f32_e32 v200, v200, v214
	v_add_f32_e32 v207, v213, v223
	v_sub_f32_e32 v213, v218, v224
	ds_write2_b64 v164, v[193:194], v[195:196] offset1:1
	v_mov_b32_e32 v193, v192
	v_fmac_f32_e32 v192, 0x3f737871, v199
	v_add_f32_e32 v179, v200, v213
	v_fmac_f32_e32 v192, 0xbf167918, v208
	v_fmac_f32_e32 v192, 0x3e9e377a, v179
	v_fma_f32 v194, -0.5, v207, v191
	v_mov_b32_e32 v195, v192
	v_mov_b32_e32 v192, v194
	v_sub_f32_e32 v211, v217, v223
	v_fmac_f32_e32 v192, 0x3f737871, v198
	v_fmac_f32_e32 v194, 0xbf737871, v198
	;; [unrolled: 1-line block ×5, first 2 shown]
	v_add_f32_e32 v181, v203, v211
	v_fmac_f32_e32 v192, 0xbf167918, v206
	v_fmac_f32_e32 v194, 0x3f167918, v206
	;; [unrolled: 1-line block ×10, first 2 shown]
	ds_write2_b64 v164, v[192:193], v[194:195] offset0:2 offset1:3
	ds_write_b64 v164, v[160:161] offset:32
	s_waitcnt lgkmcnt(0)
	s_barrier
	ds_read_b64 v[160:161], v151 offset:27216
	ds_read2_b64 v[191:194], v157 offset0:8 offset1:251
	s_waitcnt lgkmcnt(1)
	v_mul_f32_e32 v164, v35, v161
	v_mul_f32_e32 v35, v35, v160
	v_fmac_f32_e32 v164, v34, v160
	v_fma_f32 v160, v34, v161, -v35
	s_waitcnt lgkmcnt(0)
	v_mul_f32_e32 v161, v33, v194
	v_mul_f32_e32 v33, v33, v193
	v_fmac_f32_e32 v161, v32, v193
	v_fma_f32 v168, v32, v194, -v33
	ds_read2_b64 v[32:35], v156 offset0:4 offset1:247
	v_mul_f32_e32 v172, v29, v192
	v_mul_f32_e32 v29, v29, v191
	v_fmac_f32_e32 v172, v28, v191
	v_fma_f32 v179, v28, v192, -v29
	s_waitcnt lgkmcnt(0)
	v_mul_f32_e32 v181, v31, v35
	v_mul_f32_e32 v28, v31, v34
	v_fmac_f32_e32 v181, v30, v34
	v_fma_f32 v34, v30, v35, -v28
	ds_read2_b64 v[28:31], v158 offset0:2 offset1:245
	;; [unrolled: 10-line block ×4, first 2 shown]
	v_mul_f32_e32 v28, v7, v21
	v_mul_f32_e32 v7, v7, v20
	v_fmac_f32_e32 v28, v6, v20
	v_fma_f32 v6, v6, v21, -v7
	ds_read2_b64 v[20:23], v151 offset1:243
	s_waitcnt lgkmcnt(1)
	v_mul_f32_e32 v7, v5, v15
	v_fmac_f32_e32 v7, v4, v14
	v_mul_f32_e32 v5, v5, v14
	v_fma_f32 v4, v4, v15, -v5
	s_waitcnt lgkmcnt(0)
	v_add_f32_e32 v5, v20, v7
	v_add_f32_e32 v14, v5, v28
	;; [unrolled: 1-line block ×4, first 2 shown]
	v_sub_f32_e32 v194, v4, v6
	v_add_f32_e32 v4, v4, v6
	v_add_f32_e32 v5, v7, v28
	v_fma_f32 v20, -0.5, v5, v20
	v_fma_f32 v21, -0.5, v4, v21
	v_sub_f32_e32 v195, v7, v28
	v_mov_b32_e32 v28, v20
	v_mov_b32_e32 v29, v21
	v_fmac_f32_e32 v28, 0xbf5db3d7, v194
	v_fmac_f32_e32 v29, 0x3f5db3d7, v195
	;; [unrolled: 1-line block ×4, first 2 shown]
	ds_read2_b64 v[4:7], v159 offset0:6 offset1:249
	s_waitcnt lgkmcnt(0)
	s_barrier
	ds_write2_b64 v167, v[14:15], v[28:29] offset1:5
	ds_write_b64 v167, v[20:21] offset:80
	v_add_f32_e32 v15, v31, v192
	v_add_f32_e32 v20, v191, v193
	;; [unrolled: 1-line block ×3, first 2 shown]
	v_fma_f32 v22, -0.5, v15, v22
	v_add_f32_e32 v15, v23, v191
	v_fmac_f32_e32 v23, -0.5, v20
	v_sub_f32_e32 v28, v191, v193
	v_sub_f32_e32 v29, v31, v192
	v_mov_b32_e32 v20, v22
	v_mov_b32_e32 v21, v23
	v_add_f32_e32 v14, v14, v192
	v_add_f32_e32 v15, v15, v193
	v_fmac_f32_e32 v20, 0xbf5db3d7, v28
	v_fmac_f32_e32 v21, 0x3f5db3d7, v29
	ds_write2_b64 v166, v[14:15], v[20:21] offset1:5
	v_add_f32_e32 v20, v30, v32
	v_add_f32_e32 v21, v33, v35
	v_fmac_f32_e32 v22, 0x3f5db3d7, v28
	v_fmac_f32_e32 v23, 0xbf5db3d7, v29
	v_add_f32_e32 v14, v4, v33
	v_add_f32_e32 v15, v5, v30
	v_fma_f32 v4, -0.5, v21, v4
	v_fma_f32 v5, -0.5, v20, v5
	ds_write_b64 v166, v[22:23] offset:80
	v_sub_f32_e32 v22, v30, v32
	v_sub_f32_e32 v23, v33, v35
	v_mov_b32_e32 v20, v4
	v_mov_b32_e32 v21, v5
	v_add_f32_e32 v14, v14, v35
	v_add_f32_e32 v15, v15, v32
	v_fmac_f32_e32 v20, 0xbf5db3d7, v22
	v_fmac_f32_e32 v21, 0x3f5db3d7, v23
	;; [unrolled: 1-line block ×4, first 2 shown]
	ds_write2_b64 v165, v[14:15], v[20:21] offset1:5
	ds_write_b64 v165, v[4:5] offset:80
	v_add_f32_e32 v5, v172, v181
	v_add_f32_e32 v14, v179, v34
	;; [unrolled: 1-line block ×3, first 2 shown]
	v_fma_f32 v6, -0.5, v5, v6
	v_add_f32_e32 v5, v7, v179
	v_fmac_f32_e32 v7, -0.5, v14
	v_sub_f32_e32 v20, v179, v34
	v_sub_f32_e32 v21, v172, v181
	v_mov_b32_e32 v14, v6
	v_mov_b32_e32 v15, v7
	v_add_f32_e32 v4, v4, v181
	v_add_f32_e32 v5, v5, v34
	v_fmac_f32_e32 v14, 0xbf5db3d7, v20
	v_fmac_f32_e32 v15, 0x3f5db3d7, v21
	;; [unrolled: 1-line block ×4, first 2 shown]
	ds_write2_b64 v163, v[4:5], v[14:15] offset1:5
	ds_write_b64 v163, v[6:7] offset:80
	v_add_f32_e32 v5, v161, v164
	v_add_f32_e32 v6, v168, v160
	;; [unrolled: 1-line block ×3, first 2 shown]
	v_fma_f32 v12, -0.5, v5, v12
	v_add_f32_e32 v5, v13, v168
	v_fmac_f32_e32 v13, -0.5, v6
	v_sub_f32_e32 v14, v168, v160
	v_sub_f32_e32 v15, v161, v164
	v_mov_b32_e32 v6, v12
	v_mov_b32_e32 v7, v13
	v_add_f32_e32 v4, v4, v164
	v_add_f32_e32 v5, v5, v160
	v_fmac_f32_e32 v6, 0xbf5db3d7, v14
	v_fmac_f32_e32 v7, 0x3f5db3d7, v15
	;; [unrolled: 1-line block ×4, first 2 shown]
	ds_write2_b64 v162, v[4:5], v[6:7] offset1:5
	ds_write_b64 v162, v[12:13] offset:80
	s_waitcnt lgkmcnt(0)
	s_barrier
	ds_read_b64 v[12:13], v151 offset:27216
	ds_read2_b64 v[4:7], v157 offset0:8 offset1:251
	s_waitcnt lgkmcnt(1)
	v_mul_f32_e32 v20, v39, v13
	v_fmac_f32_e32 v20, v38, v12
	v_mul_f32_e32 v12, v39, v12
	v_fma_f32 v21, v38, v13, -v12
	ds_read2_b64 v[12:15], v156 offset0:4 offset1:247
	s_waitcnt lgkmcnt(1)
	v_mul_f32_e32 v28, v25, v5
	v_mul_f32_e32 v22, v37, v7
	v_fmac_f32_e32 v28, v24, v4
	v_mul_f32_e32 v4, v25, v4
	v_fmac_f32_e32 v22, v36, v6
	v_mul_f32_e32 v6, v37, v6
	v_fma_f32 v24, v24, v5, -v4
	s_waitcnt lgkmcnt(0)
	v_mul_f32_e32 v25, v27, v15
	v_mul_f32_e32 v4, v27, v14
	v_fma_f32 v23, v36, v7, -v6
	v_fmac_f32_e32 v25, v26, v14
	v_fma_f32 v26, v26, v15, -v4
	ds_read2_b64 v[4:7], v158 offset0:2 offset1:245
	v_mul_f32_e32 v27, v19, v13
	v_fmac_f32_e32 v27, v18, v12
	v_mul_f32_e32 v12, v19, v12
	v_fma_f32 v18, v18, v13, -v12
	ds_read2_b64 v[12:15], v154 offset0:6 offset1:249
	s_waitcnt lgkmcnt(1)
	v_mul_f32_e32 v19, v17, v7
	v_fmac_f32_e32 v19, v16, v6
	v_mul_f32_e32 v6, v17, v6
	v_mul_f32_e32 v17, v9, v5
	v_fmac_f32_e32 v17, v8, v4
	v_mul_f32_e32 v4, v9, v4
	v_fma_f32 v29, v8, v5, -v4
	s_waitcnt lgkmcnt(0)
	v_mul_f32_e32 v30, v11, v15
	v_mul_f32_e32 v4, v11, v14
	v_fma_f32 v16, v16, v7, -v6
	v_fmac_f32_e32 v30, v10, v14
	v_fma_f32 v14, v10, v15, -v4
	ds_read2_b64 v[4:7], v155 offset0:12 offset1:255
	ds_read2_b64 v[8:11], v151 offset1:243
	v_mul_f32_e32 v15, v3, v13
	v_mul_f32_e32 v3, v3, v12
	v_fmac_f32_e32 v15, v2, v12
	v_fma_f32 v2, v2, v13, -v3
	s_waitcnt lgkmcnt(1)
	v_mul_f32_e32 v3, v1, v7
	v_fmac_f32_e32 v3, v0, v6
	v_mul_f32_e32 v1, v1, v6
	v_fma_f32 v0, v0, v7, -v1
	s_waitcnt lgkmcnt(0)
	v_add_f32_e32 v1, v8, v3
	v_add_f32_e32 v6, v1, v15
	;; [unrolled: 1-line block ×4, first 2 shown]
	v_sub_f32_e32 v31, v0, v2
	v_add_f32_e32 v0, v0, v2
	v_add_f32_e32 v1, v3, v15
	v_fma_f32 v8, -0.5, v1, v8
	v_fma_f32 v9, -0.5, v0, v9
	v_sub_f32_e32 v15, v3, v15
	v_mov_b32_e32 v12, v8
	v_mov_b32_e32 v13, v9
	v_fmac_f32_e32 v12, 0xbf5db3d7, v31
	v_fmac_f32_e32 v13, 0x3f5db3d7, v15
	;; [unrolled: 1-line block ×4, first 2 shown]
	ds_read2_b64 v[0:3], v159 offset0:6 offset1:249
	s_waitcnt lgkmcnt(0)
	s_barrier
	ds_write2_b64 v169, v[6:7], v[12:13] offset1:15
	ds_write_b64 v169, v[8:9] offset:240
	v_add_f32_e32 v7, v17, v30
	v_add_f32_e32 v8, v29, v14
	;; [unrolled: 1-line block ×3, first 2 shown]
	v_fma_f32 v10, -0.5, v7, v10
	v_add_f32_e32 v7, v11, v29
	v_fmac_f32_e32 v11, -0.5, v8
	v_sub_f32_e32 v12, v29, v14
	v_sub_f32_e32 v13, v17, v30
	v_mov_b32_e32 v8, v10
	v_mov_b32_e32 v9, v11
	v_add_f32_e32 v6, v6, v30
	v_add_f32_e32 v7, v7, v14
	v_fmac_f32_e32 v8, 0xbf5db3d7, v12
	v_fmac_f32_e32 v9, 0x3f5db3d7, v13
	ds_write2_b64 v170, v[6:7], v[8:9] offset1:15
	v_add_f32_e32 v8, v16, v18
	v_add_f32_e32 v9, v19, v27
	v_fmac_f32_e32 v10, 0x3f5db3d7, v12
	v_fmac_f32_e32 v11, 0xbf5db3d7, v13
	v_add_f32_e32 v6, v0, v19
	v_add_f32_e32 v7, v1, v16
	v_fma_f32 v0, -0.5, v9, v0
	v_fma_f32 v1, -0.5, v8, v1
	ds_write_b64 v170, v[10:11] offset:240
	v_sub_f32_e32 v10, v16, v18
	v_sub_f32_e32 v11, v19, v27
	v_mov_b32_e32 v8, v0
	v_mov_b32_e32 v9, v1
	v_add_f32_e32 v6, v6, v27
	v_add_f32_e32 v7, v7, v18
	v_fmac_f32_e32 v8, 0xbf5db3d7, v10
	v_fmac_f32_e32 v9, 0x3f5db3d7, v11
	v_fmac_f32_e32 v0, 0x3f5db3d7, v10
	v_fmac_f32_e32 v1, 0xbf5db3d7, v11
	ds_write2_b64 v171, v[6:7], v[8:9] offset1:15
	ds_write_b64 v171, v[0:1] offset:240
	v_add_f32_e32 v1, v28, v25
	v_add_f32_e32 v6, v24, v26
	;; [unrolled: 1-line block ×3, first 2 shown]
	v_fma_f32 v2, -0.5, v1, v2
	v_add_f32_e32 v1, v3, v24
	v_fmac_f32_e32 v3, -0.5, v6
	v_sub_f32_e32 v8, v24, v26
	v_sub_f32_e32 v9, v28, v25
	v_mov_b32_e32 v6, v2
	v_mov_b32_e32 v7, v3
	v_add_f32_e32 v0, v0, v25
	v_add_f32_e32 v1, v1, v26
	v_fmac_f32_e32 v6, 0xbf5db3d7, v8
	v_fmac_f32_e32 v7, 0x3f5db3d7, v9
	;; [unrolled: 1-line block ×4, first 2 shown]
	ds_write2_b64 v174, v[0:1], v[6:7] offset1:15
	ds_write_b64 v174, v[2:3] offset:240
	v_add_f32_e32 v1, v22, v20
	v_add_f32_e32 v2, v23, v21
	;; [unrolled: 1-line block ×3, first 2 shown]
	v_fma_f32 v4, -0.5, v1, v4
	v_add_f32_e32 v1, v5, v23
	v_fmac_f32_e32 v5, -0.5, v2
	v_sub_f32_e32 v6, v23, v21
	v_sub_f32_e32 v7, v22, v20
	v_mov_b32_e32 v2, v4
	v_mov_b32_e32 v3, v5
	v_add_f32_e32 v0, v0, v20
	v_add_f32_e32 v1, v1, v21
	v_fmac_f32_e32 v2, 0xbf5db3d7, v6
	v_fmac_f32_e32 v3, 0x3f5db3d7, v7
	;; [unrolled: 1-line block ×4, first 2 shown]
	ds_write2_b64 v175, v[0:1], v[2:3] offset1:15
	ds_write_b64 v175, v[4:5] offset:240
	s_waitcnt lgkmcnt(0)
	s_barrier
	ds_read_b64 v[4:5], v151 offset:27216
	ds_read2_b64 v[0:3], v157 offset0:8 offset1:251
	s_waitcnt lgkmcnt(1)
	v_mul_f32_e32 v14, v67, v5
	s_waitcnt lgkmcnt(0)
	v_mul_f32_e32 v16, v65, v3
	v_fmac_f32_e32 v14, v66, v4
	v_mul_f32_e32 v4, v67, v4
	v_fmac_f32_e32 v16, v64, v2
	v_mul_f32_e32 v2, v65, v2
	v_fma_f32 v15, v66, v5, -v4
	v_fma_f32 v17, v64, v3, -v2
	ds_read2_b64 v[2:5], v156 offset0:4 offset1:247
	v_mul_f32_e32 v18, v53, v1
	v_fmac_f32_e32 v18, v52, v0
	v_mul_f32_e32 v0, v53, v0
	v_fma_f32 v19, v52, v1, -v0
	s_waitcnt lgkmcnt(0)
	v_mul_f32_e32 v20, v55, v5
	v_mul_f32_e32 v0, v55, v4
	v_fmac_f32_e32 v20, v54, v4
	v_fma_f32 v21, v54, v5, -v0
	ds_read2_b64 v[4:7], v158 offset0:2 offset1:245
	v_mul_f32_e32 v0, v51, v2
	v_mul_f32_e32 v22, v51, v3
	v_fma_f32 v23, v50, v3, -v0
	v_fmac_f32_e32 v22, v50, v2
	s_waitcnt lgkmcnt(0)
	v_mul_f32_e32 v0, v49, v6
	v_fma_f32 v25, v48, v7, -v0
	ds_read2_b64 v[0:3], v154 offset0:6 offset1:249
	v_mul_f32_e32 v26, v45, v5
	v_fmac_f32_e32 v26, v44, v4
	v_mul_f32_e32 v4, v45, v4
	v_fma_f32 v27, v44, v5, -v4
	s_waitcnt lgkmcnt(0)
	v_mul_f32_e32 v28, v47, v3
	v_fmac_f32_e32 v28, v46, v2
	v_mul_f32_e32 v2, v47, v2
	v_fma_f32 v29, v46, v3, -v2
	ds_read2_b64 v[2:5], v155 offset0:12 offset1:255
	v_mul_f32_e32 v24, v49, v7
	v_fmac_f32_e32 v24, v48, v6
	ds_read2_b64 v[6:9], v151 offset1:243
	v_mul_f32_e32 v12, v43, v1
	v_fmac_f32_e32 v12, v42, v0
	v_mul_f32_e32 v0, v43, v0
	v_fma_f32 v10, v42, v1, -v0
	s_waitcnt lgkmcnt(1)
	v_mul_f32_e32 v13, v41, v5
	v_mul_f32_e32 v0, v41, v4
	v_fmac_f32_e32 v13, v40, v4
	v_fma_f32 v4, v40, v5, -v0
	s_waitcnt lgkmcnt(0)
	v_add_f32_e32 v1, v7, v4
	v_sub_f32_e32 v30, v4, v10
	v_add_f32_e32 v4, v4, v10
	v_add_f32_e32 v5, v13, v12
	v_add_f32_e32 v0, v6, v13
	v_add_f32_e32 v1, v1, v10
	v_fma_f32 v10, -0.5, v5, v6
	v_fma_f32 v11, -0.5, v4, v7
	v_add_f32_e32 v0, v0, v12
	v_sub_f32_e32 v31, v13, v12
	v_mov_b32_e32 v12, v10
	v_mov_b32_e32 v13, v11
	v_fmac_f32_e32 v12, 0xbf5db3d7, v30
	v_fmac_f32_e32 v13, 0x3f5db3d7, v31
	ds_read2_b64 v[4:7], v159 offset0:6 offset1:249
	v_fmac_f32_e32 v10, 0x3f5db3d7, v30
	v_fmac_f32_e32 v11, 0xbf5db3d7, v31
	s_waitcnt lgkmcnt(0)
	s_barrier
	ds_write2_b64 v184, v[0:1], v[12:13] offset1:45
	ds_write_b64 v184, v[10:11] offset:720
	v_add_f32_e32 v1, v26, v28
	v_add_f32_e32 v10, v27, v29
	;; [unrolled: 1-line block ×3, first 2 shown]
	v_fma_f32 v8, -0.5, v1, v8
	v_add_f32_e32 v1, v9, v27
	v_sub_f32_e32 v12, v27, v29
	v_fmac_f32_e32 v9, -0.5, v10
	v_sub_f32_e32 v13, v26, v28
	v_mov_b32_e32 v10, v8
	v_mov_b32_e32 v11, v9
	v_fmac_f32_e32 v8, 0x3f5db3d7, v12
	v_fmac_f32_e32 v9, 0xbf5db3d7, v13
	v_add_f32_e32 v0, v0, v28
	v_add_f32_e32 v1, v1, v29
	v_fmac_f32_e32 v10, 0xbf5db3d7, v12
	v_fmac_f32_e32 v11, 0x3f5db3d7, v13
	ds_write_b64 v185, v[8:9] offset:720
	v_add_f32_e32 v8, v25, v23
	v_add_f32_e32 v9, v24, v22
	ds_write2_b64 v185, v[0:1], v[10:11] offset1:45
	v_add_f32_e32 v0, v4, v24
	v_add_f32_e32 v1, v5, v25
	v_fma_f32 v4, -0.5, v9, v4
	v_fma_f32 v5, -0.5, v8, v5
	v_sub_f32_e32 v10, v25, v23
	v_sub_f32_e32 v11, v24, v22
	v_mov_b32_e32 v8, v4
	v_mov_b32_e32 v9, v5
	v_add_f32_e32 v0, v0, v22
	v_add_f32_e32 v1, v1, v23
	v_fmac_f32_e32 v8, 0xbf5db3d7, v10
	v_fmac_f32_e32 v9, 0x3f5db3d7, v11
	;; [unrolled: 1-line block ×4, first 2 shown]
	ds_write2_b64 v186, v[0:1], v[8:9] offset1:45
	ds_write_b64 v186, v[4:5] offset:720
	v_add_f32_e32 v1, v18, v20
	v_add_f32_e32 v4, v19, v21
	;; [unrolled: 1-line block ×3, first 2 shown]
	v_fma_f32 v6, -0.5, v1, v6
	v_add_f32_e32 v1, v7, v19
	v_fmac_f32_e32 v7, -0.5, v4
	v_sub_f32_e32 v8, v19, v21
	v_sub_f32_e32 v9, v18, v20
	v_mov_b32_e32 v4, v6
	v_mov_b32_e32 v5, v7
	v_add_f32_e32 v0, v0, v20
	v_add_f32_e32 v1, v1, v21
	v_fmac_f32_e32 v4, 0xbf5db3d7, v8
	v_fmac_f32_e32 v5, 0x3f5db3d7, v9
	ds_write2_b64 v182, v[0:1], v[4:5] offset1:45
	v_add_f32_e32 v0, v16, v14
	v_add_f32_e32 v1, v2, v16
	v_fma_f32 v2, -0.5, v0, v2
	v_sub_f32_e32 v4, v17, v15
	v_mov_b32_e32 v0, v2
	v_fmac_f32_e32 v0, 0xbf5db3d7, v4
	v_fmac_f32_e32 v2, 0x3f5db3d7, v4
	v_add_f32_e32 v4, v1, v14
	v_add_f32_e32 v1, v3, v17
	;; [unrolled: 1-line block ×4, first 2 shown]
	v_fmac_f32_e32 v6, 0x3f5db3d7, v8
	v_fmac_f32_e32 v3, -0.5, v1
	v_sub_f32_e32 v8, v16, v14
	v_fmac_f32_e32 v7, 0xbf5db3d7, v9
	v_mov_b32_e32 v1, v3
	v_fmac_f32_e32 v3, 0xbf5db3d7, v8
	v_fmac_f32_e32 v1, 0x3f5db3d7, v8
	ds_write_b64 v182, v[6:7] offset:720
	ds_write2_b64 v183, v[4:5], v[0:1] offset1:45
	ds_write_b64 v183, v[2:3] offset:720
	s_waitcnt lgkmcnt(0)
	s_barrier
	ds_read2_b64 v[2:5], v155 offset0:12 offset1:255
	ds_read2_b64 v[6:9], v154 offset0:6 offset1:249
	s_waitcnt lgkmcnt(1)
	v_mul_f32_e32 v0, v89, v4
	v_mul_f32_e32 v14, v89, v5
	v_fma_f32 v15, v88, v5, -v0
	s_waitcnt lgkmcnt(0)
	v_mul_f32_e32 v16, v91, v7
	v_mul_f32_e32 v0, v91, v6
	v_fmac_f32_e32 v14, v88, v4
	v_fmac_f32_e32 v16, v90, v6
	v_fma_f32 v17, v90, v7, -v0
	ds_read2_b64 v[4:7], v158 offset0:2 offset1:245
	v_mul_f32_e32 v0, v83, v8
	v_mul_f32_e32 v18, v83, v9
	v_fma_f32 v19, v82, v9, -v0
	v_fmac_f32_e32 v18, v82, v8
	s_waitcnt lgkmcnt(0)
	v_mul_f32_e32 v0, v81, v4
	v_mul_f32_e32 v20, v81, v5
	v_fma_f32 v21, v80, v5, -v0
	ds_read2_b64 v[8:11], v156 offset0:4 offset1:247
	v_mul_f32_e32 v22, v97, v7
	v_mul_f32_e32 v0, v97, v6
	v_fmac_f32_e32 v20, v80, v4
	v_fmac_f32_e32 v22, v96, v6
	v_fma_f32 v23, v96, v7, -v0
	ds_read2_b64 v[4:7], v157 offset0:8 offset1:251
	s_waitcnt lgkmcnt(1)
	v_mul_f32_e32 v0, v99, v8
	v_fma_f32 v25, v98, v9, -v0
	v_mul_f32_e32 v0, v71, v10
	v_fma_f32 v27, v70, v11, -v0
	s_waitcnt lgkmcnt(0)
	v_mul_f32_e32 v28, v69, v5
	ds_read_b64 v[0:1], v151 offset:27216
	v_fmac_f32_e32 v28, v68, v4
	v_mul_f32_e32 v4, v69, v4
	v_fma_f32 v29, v68, v5, -v4
	v_mul_f32_e32 v30, v85, v7
	v_mul_f32_e32 v4, v85, v6
	v_fmac_f32_e32 v30, v84, v6
	v_fma_f32 v31, v84, v7, -v4
	ds_read2_b64 v[4:7], v151 offset1:243
	s_waitcnt lgkmcnt(1)
	v_mul_f32_e32 v32, v87, v1
	v_fmac_f32_e32 v32, v86, v0
	v_mul_f32_e32 v0, v87, v0
	v_fma_f32 v33, v86, v1, -v0
	s_waitcnt lgkmcnt(0)
	v_add_f32_e32 v1, v4, v14
	v_add_f32_e32 v0, v14, v16
	;; [unrolled: 1-line block ×4, first 2 shown]
	v_mul_f32_e32 v24, v99, v9
	v_fma_f32 v4, -0.5, v0, v4
	v_add_f32_e32 v13, v1, v17
	v_add_f32_e32 v1, v15, v17
	v_fmac_f32_e32 v24, v98, v8
	v_sub_f32_e32 v8, v15, v17
	v_mov_b32_e32 v0, v4
	v_fma_f32 v5, -0.5, v1, v5
	v_fmac_f32_e32 v0, 0xbf5db3d7, v8
	v_fmac_f32_e32 v4, 0x3f5db3d7, v8
	v_sub_f32_e32 v8, v14, v16
	v_mov_b32_e32 v1, v5
	v_fmac_f32_e32 v1, 0x3f5db3d7, v8
	v_fmac_f32_e32 v5, 0xbf5db3d7, v8
	v_add_f32_e32 v8, v6, v20
	v_add_f32_e32 v16, v8, v18
	;; [unrolled: 1-line block ×6, first 2 shown]
	v_fma_f32 v6, -0.5, v9, v6
	v_fmac_f32_e32 v7, -0.5, v8
	v_mul_f32_e32 v26, v71, v11
	v_sub_f32_e32 v9, v21, v19
	v_mov_b32_e32 v14, v6
	v_sub_f32_e32 v8, v20, v18
	v_mov_b32_e32 v15, v7
	v_fmac_f32_e32 v26, v70, v10
	v_fmac_f32_e32 v14, 0xbf5db3d7, v9
	;; [unrolled: 1-line block ×5, first 2 shown]
	ds_read2_b64 v[8:11], v159 offset0:6 offset1:249
	s_waitcnt lgkmcnt(0)
	s_barrier
	ds_write2_b64 v176, v[12:13], v[0:1] offset1:135
	v_add_f32_e32 v0, v22, v24
	v_fma_f32 v12, -0.5, v0, v8
	v_sub_f32_e32 v0, v23, v25
	v_mov_b32_e32 v18, v12
	v_fmac_f32_e32 v18, 0xbf5db3d7, v0
	v_fmac_f32_e32 v12, 0x3f5db3d7, v0
	v_add_f32_e32 v0, v8, v22
	v_add_f32_e32 v20, v0, v24
	;; [unrolled: 1-line block ×5, first 2 shown]
	v_fma_f32 v13, -0.5, v0, v9
	v_sub_f32_e32 v0, v22, v24
	v_mov_b32_e32 v19, v13
	v_fmac_f32_e32 v19, 0x3f5db3d7, v0
	v_fmac_f32_e32 v13, 0xbf5db3d7, v0
	v_add_f32_e32 v0, v10, v28
	v_add_f32_e32 v22, v0, v26
	;; [unrolled: 1-line block ×5, first 2 shown]
	v_fmac_f32_e32 v11, -0.5, v0
	v_add_f32_e32 v1, v28, v26
	v_sub_f32_e32 v0, v28, v26
	v_mov_b32_e32 v9, v11
	v_fma_f32 v10, -0.5, v1, v10
	v_fmac_f32_e32 v9, 0x3f5db3d7, v0
	v_fmac_f32_e32 v11, 0xbf5db3d7, v0
	v_add_f32_e32 v0, v2, v30
	v_sub_f32_e32 v1, v29, v27
	v_mov_b32_e32 v8, v10
	v_add_f32_e32 v26, v0, v32
	v_add_f32_e32 v0, v3, v31
	v_fmac_f32_e32 v8, 0xbf5db3d7, v1
	v_fmac_f32_e32 v10, 0x3f5db3d7, v1
	v_add_f32_e32 v1, v30, v32
	v_add_f32_e32 v27, v0, v33
	;; [unrolled: 1-line block ×3, first 2 shown]
	v_fma_f32 v2, -0.5, v1, v2
	v_fmac_f32_e32 v3, -0.5, v0
	v_sub_f32_e32 v1, v31, v33
	v_mov_b32_e32 v24, v2
	v_sub_f32_e32 v0, v30, v32
	v_mov_b32_e32 v25, v3
	v_fmac_f32_e32 v24, 0xbf5db3d7, v1
	v_fmac_f32_e32 v2, 0x3f5db3d7, v1
	;; [unrolled: 1-line block ×4, first 2 shown]
	ds_write_b64 v176, v[4:5] offset:2160
	ds_write2_b64 v173, v[16:17], v[14:15] offset1:135
	ds_write_b64 v173, v[6:7] offset:2160
	ds_write2_b64 v177, v[20:21], v[18:19] offset1:135
	;; [unrolled: 2-line block ×4, first 2 shown]
	ds_write_b64 v180, v[2:3] offset:2160
	s_waitcnt lgkmcnt(0)
	s_barrier
	ds_read2_b64 v[2:5], v151 offset1:243
	ds_read2_b64 v[6:9], v155 offset0:12 offset1:255
	ds_read2_b64 v[10:13], v154 offset0:6 offset1:249
	;; [unrolled: 1-line block ×6, first 2 shown]
	ds_read_b64 v[30:31], v151 offset:27216
	s_waitcnt lgkmcnt(6)
	v_mul_f32_e32 v32, v61, v9
	v_fmac_f32_e32 v32, v60, v8
	v_mul_f32_e32 v8, v61, v8
	v_fma_f32 v33, v60, v9, -v8
	s_waitcnt lgkmcnt(5)
	v_mul_f32_e32 v8, v63, v10
	v_mul_f32_e32 v34, v63, v11
	v_fma_f32 v11, v62, v11, -v8
	s_waitcnt lgkmcnt(4)
	v_mul_f32_e32 v8, v57, v14
	v_mul_f32_e32 v35, v57, v15
	v_fma_f32 v15, v56, v15, -v8
	v_mul_f32_e32 v8, v59, v12
	v_fma_f32 v37, v58, v13, -v8
	;; [unrolled: 2-line block ×3, first 2 shown]
	s_waitcnt lgkmcnt(2)
	v_mul_f32_e32 v8, v79, v22
	v_mul_f32_e32 v40, v79, v23
	v_fma_f32 v23, v78, v23, -v8
	s_waitcnt lgkmcnt(1)
	v_mul_f32_e32 v8, v73, v26
	v_mul_f32_e32 v41, v73, v27
	v_fma_f32 v27, v72, v27, -v8
	v_mul_f32_e32 v8, v75, v24
	v_fmac_f32_e32 v34, v62, v10
	v_fma_f32 v43, v74, v25, -v8
	v_mul_f32_e32 v8, v93, v28
	v_fma_f32 v45, v92, v29, -v8
	s_waitcnt lgkmcnt(0)
	v_mul_f32_e32 v8, v95, v30
	v_add_f32_e32 v9, v32, v34
	v_mul_f32_e32 v46, v95, v31
	v_fma_f32 v31, v94, v31, -v8
	v_add_f32_e32 v8, v2, v32
	v_fma_f32 v2, -0.5, v9, v2
	v_sub_f32_e32 v9, v33, v11
	v_mov_b32_e32 v10, v2
	v_fmac_f32_e32 v10, 0xbf5db3d7, v9
	v_fmac_f32_e32 v2, 0x3f5db3d7, v9
	v_add_f32_e32 v9, v3, v33
	v_mul_f32_e32 v36, v59, v13
	v_add_f32_e32 v9, v9, v11
	v_add_f32_e32 v11, v33, v11
	v_fmac_f32_e32 v35, v56, v14
	v_fmac_f32_e32 v36, v58, v12
	v_fma_f32 v3, -0.5, v11, v3
	v_sub_f32_e32 v12, v32, v34
	v_mov_b32_e32 v11, v3
	v_add_f32_e32 v13, v35, v36
	v_fmac_f32_e32 v11, 0x3f5db3d7, v12
	v_fmac_f32_e32 v3, 0xbf5db3d7, v12
	v_add_f32_e32 v12, v4, v35
	v_fma_f32 v4, -0.5, v13, v4
	v_sub_f32_e32 v13, v15, v37
	v_mov_b32_e32 v14, v4
	v_mul_f32_e32 v38, v77, v17
	v_fmac_f32_e32 v14, 0xbf5db3d7, v13
	v_fmac_f32_e32 v4, 0x3f5db3d7, v13
	v_add_f32_e32 v13, v5, v15
	v_add_f32_e32 v15, v15, v37
	v_fmac_f32_e32 v38, v76, v16
	v_fmac_f32_e32 v40, v78, v22
	v_fmac_f32_e32 v5, -0.5, v15
	v_sub_f32_e32 v16, v35, v36
	v_mov_b32_e32 v15, v5
	v_add_f32_e32 v17, v38, v40
	v_fmac_f32_e32 v15, 0x3f5db3d7, v16
	v_fmac_f32_e32 v5, 0xbf5db3d7, v16
	v_add_f32_e32 v16, v18, v38
	v_fma_f32 v18, -0.5, v17, v18
	v_sub_f32_e32 v17, v39, v23
	v_mov_b32_e32 v22, v18
	v_fmac_f32_e32 v22, 0xbf5db3d7, v17
	v_fmac_f32_e32 v18, 0x3f5db3d7, v17
	v_add_f32_e32 v17, v19, v39
	v_mul_f32_e32 v42, v75, v25
	v_add_f32_e32 v17, v17, v23
	v_add_f32_e32 v23, v39, v23
	v_fmac_f32_e32 v41, v72, v26
	v_fmac_f32_e32 v42, v74, v24
	v_fma_f32 v19, -0.5, v23, v19
	v_sub_f32_e32 v24, v38, v40
	v_mov_b32_e32 v23, v19
	v_add_f32_e32 v25, v41, v42
	v_fmac_f32_e32 v23, 0x3f5db3d7, v24
	v_fmac_f32_e32 v19, 0xbf5db3d7, v24
	v_add_f32_e32 v24, v20, v41
	v_fma_f32 v20, -0.5, v25, v20
	v_sub_f32_e32 v25, v27, v43
	v_mov_b32_e32 v26, v20
	v_mul_f32_e32 v44, v93, v29
	v_fmac_f32_e32 v26, 0xbf5db3d7, v25
	v_fmac_f32_e32 v20, 0x3f5db3d7, v25
	v_add_f32_e32 v25, v21, v27
	v_add_f32_e32 v27, v27, v43
	v_fmac_f32_e32 v44, v92, v28
	v_fmac_f32_e32 v46, v94, v30
	v_fmac_f32_e32 v21, -0.5, v27
	v_sub_f32_e32 v28, v41, v42
	v_mov_b32_e32 v27, v21
	v_add_f32_e32 v29, v44, v46
	v_fmac_f32_e32 v27, 0x3f5db3d7, v28
	v_fmac_f32_e32 v21, 0xbf5db3d7, v28
	v_add_f32_e32 v28, v6, v44
	v_fma_f32 v6, -0.5, v29, v6
	v_sub_f32_e32 v29, v45, v31
	v_mov_b32_e32 v30, v6
	v_fmac_f32_e32 v30, 0xbf5db3d7, v29
	v_fmac_f32_e32 v6, 0x3f5db3d7, v29
	v_add_f32_e32 v29, v7, v45
	v_add_f32_e32 v29, v29, v31
	;; [unrolled: 1-line block ×3, first 2 shown]
	v_fmac_f32_e32 v7, -0.5, v31
	v_sub_f32_e32 v32, v44, v46
	v_mov_b32_e32 v31, v7
	v_add_f32_e32 v8, v8, v34
	v_add_f32_e32 v12, v12, v36
	;; [unrolled: 1-line block ×7, first 2 shown]
	v_fmac_f32_e32 v31, 0x3f5db3d7, v32
	v_fmac_f32_e32 v7, 0xbf5db3d7, v32
	s_barrier
	ds_write_b64 v151, v[8:9]
	ds_write_b64 v151, v[10:11] offset:3240
	ds_write_b64 v151, v[2:3] offset:6480
	ds_write_b64 v187, v[12:13]
	ds_write_b64 v187, v[14:15] offset:3240
	ds_write_b64 v187, v[4:5] offset:6480
	;; [unrolled: 1-line block ×5, first 2 shown]
	ds_write_b64 v188, v[24:25]
	ds_write_b64 v188, v[26:27] offset:3240
	ds_write_b64 v188, v[20:21] offset:6480
	;; [unrolled: 1-line block ×5, first 2 shown]
	s_waitcnt lgkmcnt(0)
	s_barrier
	ds_read2_b64 v[2:5], v151 offset1:243
	ds_read2_b64 v[6:9], v155 offset0:12 offset1:255
	ds_read2_b64 v[10:13], v154 offset0:6 offset1:249
	;; [unrolled: 1-line block ×6, first 2 shown]
	ds_read_b64 v[30:31], v151 offset:27216
	s_waitcnt lgkmcnt(6)
	v_mul_f32_e32 v32, v105, v9
	v_fmac_f32_e32 v32, v104, v8
	v_mul_f32_e32 v8, v105, v8
	v_fma_f32 v33, v104, v9, -v8
	s_waitcnt lgkmcnt(5)
	v_mul_f32_e32 v8, v107, v10
	v_mul_f32_e32 v34, v107, v11
	v_fma_f32 v11, v106, v11, -v8
	s_waitcnt lgkmcnt(4)
	v_mul_f32_e32 v8, v101, v14
	v_mul_f32_e32 v35, v101, v15
	v_fma_f32 v15, v100, v15, -v8
	v_mul_f32_e32 v8, v103, v12
	v_fma_f32 v37, v102, v13, -v8
	v_mul_f32_e32 v8, v109, v16
	v_fma_f32 v39, v108, v17, -v8
	s_waitcnt lgkmcnt(2)
	v_mul_f32_e32 v8, v111, v22
	v_mul_f32_e32 v40, v111, v23
	v_fma_f32 v23, v110, v23, -v8
	s_waitcnt lgkmcnt(1)
	v_mul_f32_e32 v8, v113, v26
	v_mul_f32_e32 v41, v113, v27
	v_fma_f32 v27, v112, v27, -v8
	v_mul_f32_e32 v8, v115, v24
	v_fmac_f32_e32 v34, v106, v10
	v_fma_f32 v43, v114, v25, -v8
	v_mul_f32_e32 v8, v117, v28
	v_fma_f32 v45, v116, v29, -v8
	s_waitcnt lgkmcnt(0)
	v_mul_f32_e32 v8, v119, v30
	v_add_f32_e32 v9, v32, v34
	v_mul_f32_e32 v46, v119, v31
	v_fma_f32 v31, v118, v31, -v8
	v_add_f32_e32 v8, v2, v32
	v_fma_f32 v2, -0.5, v9, v2
	v_sub_f32_e32 v9, v33, v11
	v_mov_b32_e32 v10, v2
	v_fmac_f32_e32 v10, 0xbf5db3d7, v9
	v_fmac_f32_e32 v2, 0x3f5db3d7, v9
	v_add_f32_e32 v9, v3, v33
	v_mul_f32_e32 v36, v103, v13
	v_add_f32_e32 v9, v9, v11
	v_add_f32_e32 v11, v33, v11
	v_fmac_f32_e32 v35, v100, v14
	v_fmac_f32_e32 v36, v102, v12
	v_fma_f32 v3, -0.5, v11, v3
	v_sub_f32_e32 v12, v32, v34
	v_mov_b32_e32 v11, v3
	v_add_f32_e32 v13, v35, v36
	v_fmac_f32_e32 v11, 0x3f5db3d7, v12
	v_fmac_f32_e32 v3, 0xbf5db3d7, v12
	v_add_f32_e32 v12, v4, v35
	v_fma_f32 v4, -0.5, v13, v4
	v_sub_f32_e32 v13, v15, v37
	v_mov_b32_e32 v14, v4
	v_mul_f32_e32 v38, v109, v17
	v_fmac_f32_e32 v14, 0xbf5db3d7, v13
	v_fmac_f32_e32 v4, 0x3f5db3d7, v13
	v_add_f32_e32 v13, v5, v15
	v_add_f32_e32 v15, v15, v37
	v_fmac_f32_e32 v38, v108, v16
	v_fmac_f32_e32 v40, v110, v22
	v_fmac_f32_e32 v5, -0.5, v15
	v_sub_f32_e32 v16, v35, v36
	v_mov_b32_e32 v15, v5
	v_add_f32_e32 v17, v38, v40
	v_fmac_f32_e32 v15, 0x3f5db3d7, v16
	v_fmac_f32_e32 v5, 0xbf5db3d7, v16
	v_add_f32_e32 v16, v18, v38
	v_fma_f32 v18, -0.5, v17, v18
	v_sub_f32_e32 v17, v39, v23
	v_mov_b32_e32 v22, v18
	v_fmac_f32_e32 v22, 0xbf5db3d7, v17
	v_fmac_f32_e32 v18, 0x3f5db3d7, v17
	v_add_f32_e32 v17, v19, v39
	v_mul_f32_e32 v42, v115, v25
	v_add_f32_e32 v17, v17, v23
	v_add_f32_e32 v23, v39, v23
	v_fmac_f32_e32 v41, v112, v26
	v_fmac_f32_e32 v42, v114, v24
	v_fma_f32 v19, -0.5, v23, v19
	v_sub_f32_e32 v24, v38, v40
	v_mov_b32_e32 v23, v19
	v_add_f32_e32 v25, v41, v42
	v_fmac_f32_e32 v23, 0x3f5db3d7, v24
	v_fmac_f32_e32 v19, 0xbf5db3d7, v24
	v_add_f32_e32 v24, v20, v41
	v_fma_f32 v20, -0.5, v25, v20
	v_sub_f32_e32 v25, v27, v43
	v_mov_b32_e32 v26, v20
	v_mul_f32_e32 v44, v117, v29
	v_fmac_f32_e32 v26, 0xbf5db3d7, v25
	v_fmac_f32_e32 v20, 0x3f5db3d7, v25
	v_add_f32_e32 v25, v21, v27
	v_add_f32_e32 v27, v27, v43
	v_fmac_f32_e32 v44, v116, v28
	v_fmac_f32_e32 v46, v118, v30
	v_fmac_f32_e32 v21, -0.5, v27
	v_sub_f32_e32 v28, v41, v42
	v_mov_b32_e32 v27, v21
	v_add_f32_e32 v29, v44, v46
	v_fmac_f32_e32 v27, 0x3f5db3d7, v28
	v_fmac_f32_e32 v21, 0xbf5db3d7, v28
	v_add_f32_e32 v28, v6, v44
	v_fma_f32 v6, -0.5, v29, v6
	v_sub_f32_e32 v29, v45, v31
	v_mov_b32_e32 v30, v6
	v_fmac_f32_e32 v30, 0xbf5db3d7, v29
	v_fmac_f32_e32 v6, 0x3f5db3d7, v29
	v_add_f32_e32 v29, v7, v45
	v_add_f32_e32 v29, v29, v31
	;; [unrolled: 1-line block ×3, first 2 shown]
	v_fmac_f32_e32 v7, -0.5, v31
	v_sub_f32_e32 v32, v44, v46
	v_mov_b32_e32 v31, v7
	v_add_f32_e32 v8, v8, v34
	v_add_f32_e32 v12, v12, v36
	;; [unrolled: 1-line block ×7, first 2 shown]
	v_fmac_f32_e32 v31, 0x3f5db3d7, v32
	v_fmac_f32_e32 v7, 0xbf5db3d7, v32
	ds_write_b64 v151, v[10:11] offset:9720
	ds_write_b64 v151, v[2:3] offset:19440
	ds_write2_b64 v151, v[8:9], v[12:13] offset1:243
	ds_write2_b64 v158, v[14:15], v[22:23] offset0:2 offset1:245
	ds_write2_b64 v190, v[4:5], v[18:19] offset0:1 offset1:244
	;; [unrolled: 1-line block ×3, first 2 shown]
	ds_write_b64 v151, v[20:21] offset:25272
	ds_write_b64 v151, v[28:29] offset:7776
	ds_write2_b64 v157, v[26:27], v[30:31] offset0:8 offset1:251
	ds_write_b64 v151, v[6:7] offset:27216
	s_waitcnt lgkmcnt(0)
	s_barrier
	ds_read2_b64 v[2:5], v151 offset1:243
	v_mad_u64_u32 v[0:1], s[6:7], s2, v138, 0
	v_mad_u64_u32 v[10:11], s[6:7], s0, v153, 0
	s_waitcnt lgkmcnt(0)
	v_mad_u64_u32 v[6:7], s[2:3], s3, v138, v[1:2]
	v_mul_f32_e32 v1, v150, v3
	v_fmac_f32_e32 v1, v149, v2
	v_cvt_f64_f32_e32 v[7:8], v1
	s_mov_b32 s2, 0x8098d3d3
	s_mov_b32 s3, 0x3f31facd
	v_mul_f32_e32 v1, v150, v2
	v_mul_f64 v[7:8], v[7:8], s[2:3]
	v_fma_f32 v1, v149, v3, -v1
	v_cvt_f64_f32_e32 v[1:2], v1
	v_mov_b32_e32 v14, s5
	s_mul_hi_u32 s5, s0, 0x16c8
	v_mul_f64 v[2:3], v[1:2], s[2:3]
	v_mov_b32_e32 v1, v6
	v_mov_b32_e32 v6, v11
	v_mad_u64_u32 v[11:12], s[6:7], s1, v153, v[6:7]
	v_cvt_f32_f64_e32 v12, v[7:8]
	ds_read2_b64 v[6:9], v159 offset0:6 offset1:249
	v_lshlrev_b64 v[0:1], 3, v[0:1]
	v_cvt_f32_f64_e32 v13, v[2:3]
	v_add_co_u32_e32 v15, vcc, s4, v0
	s_waitcnt lgkmcnt(0)
	v_mul_f32_e32 v2, v148, v9
	v_fmac_f32_e32 v2, v147, v8
	v_cvt_f64_f32_e32 v[2:3], v2
	v_mul_f32_e32 v8, v148, v8
	v_fma_f32 v8, v147, v9, -v8
	v_addc_co_u32_e32 v14, vcc, v14, v1, vcc
	v_mul_f64 v[0:1], v[2:3], s[2:3]
	v_cvt_f64_f32_e32 v[8:9], v8
	v_lshlrev_b64 v[2:3], 3, v[10:11]
	s_mul_i32 s4, s1, 0x16c8
	v_add_co_u32_e32 v10, vcc, v15, v2
	v_mul_f64 v[8:9], v[8:9], s[2:3]
	v_addc_co_u32_e32 v11, vcc, v14, v3, vcc
	global_store_dwordx2 v[10:11], v[12:13], off
	v_cvt_f32_f64_e32 v12, v[0:1]
	ds_read2_b64 v[0:3], v158 offset0:2 offset1:245
	s_add_i32 s4, s5, s4
	s_mul_i32 s5, s0, 0x16c8
	v_cvt_f32_f64_e32 v13, v[8:9]
	v_mov_b32_e32 v17, s4
	s_waitcnt lgkmcnt(0)
	v_mul_f32_e32 v8, v146, v1
	v_fmac_f32_e32 v8, v145, v0
	v_mul_f32_e32 v0, v146, v0
	v_fma_f32 v0, v145, v1, -v0
	v_cvt_f64_f32_e32 v[8:9], v8
	v_cvt_f64_f32_e32 v[0:1], v0
	v_add_co_u32_e32 v16, vcc, s5, v10
	v_mul_f64 v[14:15], v[8:9], s[2:3]
	v_mul_f64 v[0:1], v[0:1], s[2:3]
	v_addc_co_u32_e32 v17, vcc, v11, v17, vcc
	ds_read2_b64 v[8:11], v157 offset0:8 offset1:251
	global_store_dwordx2 v[16:17], v[12:13], off
	v_mov_b32_e32 v20, s4
	v_add_co_u32_e32 v16, vcc, s5, v16
	v_cvt_f32_f64_e32 v14, v[14:15]
	v_cvt_f32_f64_e32 v15, v[0:1]
	s_waitcnt lgkmcnt(0)
	v_mul_f32_e32 v0, v142, v11
	v_fmac_f32_e32 v0, v141, v10
	v_mul_f32_e32 v10, v142, v10
	v_fma_f32 v10, v141, v11, -v10
	v_cvt_f64_f32_e32 v[18:19], v10
	ds_read2_b64 v[10:13], v156 offset0:4 offset1:247
	v_cvt_f64_f32_e32 v[0:1], v0
	v_addc_co_u32_e32 v17, vcc, v17, v20, vcc
	global_store_dwordx2 v[16:17], v[14:15], off
	v_mul_f64 v[14:15], v[18:19], s[2:3]
	s_waitcnt lgkmcnt(0)
	v_mul_f32_e32 v18, v144, v11
	v_fmac_f32_e32 v18, v143, v10
	v_mul_f32_e32 v10, v144, v10
	v_mul_f64 v[0:1], v[0:1], s[2:3]
	v_fma_f32 v10, v143, v11, -v10
	v_cvt_f64_f32_e32 v[10:11], v10
	v_cvt_f64_f32_e32 v[18:19], v18
	s_mulk_i32 s1, 0xac78
	v_mul_f64 v[10:11], v[10:11], s[2:3]
	v_cvt_f32_f64_e32 v0, v[0:1]
	v_cvt_f32_f64_e32 v1, v[14:15]
	v_mul_f64 v[14:15], v[18:19], s[2:3]
	v_mov_b32_e32 v19, s4
	v_add_co_u32_e32 v18, vcc, s5, v16
	v_addc_co_u32_e32 v19, vcc, v17, v19, vcc
	global_store_dwordx2 v[18:19], v[0:1], off
	v_cvt_f32_f64_e32 v1, v[10:11]
	v_mul_f32_e32 v10, v140, v5
	v_fmac_f32_e32 v10, v139, v4
	v_cvt_f64_f32_e32 v[10:11], v10
	v_mul_f32_e32 v4, v140, v4
	v_cvt_f32_f64_e32 v0, v[14:15]
	v_fma_f32 v4, v139, v5, -v4
	ds_read2_b64 v[14:17], v155 offset0:12 offset1:255
	v_cvt_f64_f32_e32 v[4:5], v4
	v_mul_f64 v[10:11], v[10:11], s[2:3]
	v_add_co_u32_e32 v18, vcc, s5, v18
	v_addc_co_u32_e32 v19, vcc, v19, v20, vcc
	v_mul_f64 v[4:5], v[4:5], s[2:3]
	s_waitcnt lgkmcnt(0)
	v_mul_f32_e32 v20, v137, v15
	v_fmac_f32_e32 v20, v136, v14
	v_cvt_f64_f32_e32 v[20:21], v20
	v_mul_f32_e32 v14, v137, v14
	v_fma_f32 v14, v136, v15, -v14
	v_cvt_f64_f32_e32 v[14:15], v14
	global_store_dwordx2 v[18:19], v[0:1], off
	v_cvt_f32_f64_e32 v0, v[10:11]
	v_mul_f64 v[10:11], v[20:21], s[2:3]
	v_mad_u64_u32 v[18:19], s[6:7], s0, v152, v[18:19]
	v_mul_f64 v[14:15], v[14:15], s[2:3]
	v_cvt_f32_f64_e32 v1, v[4:5]
	s_sub_i32 s6, s1, s0
	v_add_u32_e32 v19, s6, v19
	v_mov_b32_e32 v20, s4
	global_store_dwordx2 v[18:19], v[0:1], off
	v_mul_f32_e32 v0, v135, v3
	v_fmac_f32_e32 v0, v134, v2
	v_cvt_f32_f64_e32 v4, v[10:11]
	v_cvt_f64_f32_e32 v[10:11], v0
	v_mul_f32_e32 v0, v135, v2
	v_fma_f32 v0, v134, v3, -v0
	v_cvt_f32_f64_e32 v5, v[14:15]
	v_cvt_f64_f32_e32 v[14:15], v0
	ds_read2_b64 v[0:3], v154 offset0:6 offset1:249
	v_add_co_u32_e32 v18, vcc, s5, v18
	v_addc_co_u32_e32 v19, vcc, v19, v20, vcc
	global_store_dwordx2 v[18:19], v[4:5], off
	v_mul_f64 v[4:5], v[10:11], s[2:3]
	v_mul_f64 v[10:11], v[14:15], s[2:3]
	s_waitcnt lgkmcnt(0)
	v_mul_f32_e32 v14, v131, v1
	v_fmac_f32_e32 v14, v130, v0
	v_mul_f32_e32 v0, v131, v0
	v_fma_f32 v0, v130, v1, -v0
	v_cvt_f64_f32_e32 v[14:15], v14
	v_cvt_f64_f32_e32 v[0:1], v0
	v_cvt_f32_f64_e32 v4, v[4:5]
	v_cvt_f32_f64_e32 v5, v[10:11]
	v_mul_f64 v[10:11], v[14:15], s[2:3]
	v_mul_f64 v[0:1], v[0:1], s[2:3]
	v_mov_b32_e32 v15, s4
	v_add_co_u32_e32 v14, vcc, s5, v18
	v_addc_co_u32_e32 v15, vcc, v19, v15, vcc
	global_store_dwordx2 v[14:15], v[4:5], off
	v_cvt_f32_f64_e32 v4, v[10:11]
	v_cvt_f32_f64_e32 v5, v[0:1]
	v_mul_f32_e32 v0, v133, v13
	v_mul_f32_e32 v10, v133, v12
	v_fmac_f32_e32 v0, v132, v12
	v_fma_f32 v10, v132, v13, -v10
	v_cvt_f64_f32_e32 v[0:1], v0
	v_cvt_f64_f32_e32 v[10:11], v10
	v_mov_b32_e32 v18, s4
	v_add_co_u32_e32 v12, vcc, s5, v14
	v_addc_co_u32_e32 v13, vcc, v15, v18, vcc
	global_store_dwordx2 v[12:13], v[4:5], off
	v_mul_f64 v[0:1], v[0:1], s[2:3]
	v_mul_f64 v[4:5], v[10:11], s[2:3]
	v_mul_f32_e32 v10, v129, v7
	v_fmac_f32_e32 v10, v128, v6
	v_mul_f32_e32 v6, v129, v6
	v_fma_f32 v6, v128, v7, -v6
	v_cvt_f64_f32_e32 v[10:11], v10
	v_cvt_f64_f32_e32 v[6:7], v6
	v_cvt_f32_f64_e32 v0, v[0:1]
	v_cvt_f32_f64_e32 v1, v[4:5]
	v_mul_f64 v[4:5], v[10:11], s[2:3]
	v_mul_f64 v[6:7], v[6:7], s[2:3]
	v_mov_b32_e32 v11, s4
	v_add_co_u32_e32 v10, vcc, s5, v12
	v_addc_co_u32_e32 v11, vcc, v13, v11, vcc
	global_store_dwordx2 v[10:11], v[0:1], off
	v_cvt_f32_f64_e32 v0, v[4:5]
	v_cvt_f32_f64_e32 v1, v[6:7]
	v_mad_u64_u32 v[4:5], s[0:1], s0, v152, v[10:11]
	v_mul_f32_e32 v6, v127, v17
	v_mul_f32_e32 v10, v127, v16
	v_fmac_f32_e32 v6, v126, v16
	v_fma_f32 v10, v126, v17, -v10
	v_cvt_f64_f32_e32 v[6:7], v6
	v_cvt_f64_f32_e32 v[10:11], v10
	v_add_u32_e32 v5, s6, v5
	global_store_dwordx2 v[4:5], v[0:1], off
	v_mul_f64 v[0:1], v[6:7], s[2:3]
	v_mul_f64 v[6:7], v[10:11], s[2:3]
	v_mul_f32_e32 v10, v125, v9
	v_fmac_f32_e32 v10, v124, v8
	v_cvt_f64_f32_e32 v[10:11], v10
	v_mul_f32_e32 v8, v125, v8
	v_fma_f32 v8, v124, v9, -v8
	v_cvt_f64_f32_e32 v[8:9], v8
	v_cvt_f32_f64_e32 v0, v[0:1]
	v_cvt_f32_f64_e32 v1, v[6:7]
	v_mul_f64 v[6:7], v[10:11], s[2:3]
	v_mul_f64 v[8:9], v[8:9], s[2:3]
	v_mov_b32_e32 v10, s4
	v_add_co_u32_e32 v4, vcc, s5, v4
	v_addc_co_u32_e32 v5, vcc, v5, v10, vcc
	global_store_dwordx2 v[4:5], v[0:1], off
	v_cvt_f32_f64_e32 v0, v[6:7]
	v_mul_f32_e32 v6, v123, v3
	v_fmac_f32_e32 v6, v122, v2
	v_mul_f32_e32 v2, v123, v2
	v_fma_f32 v2, v122, v3, -v2
	v_cvt_f32_f64_e32 v1, v[8:9]
	v_cvt_f64_f32_e32 v[6:7], v6
	v_cvt_f64_f32_e32 v[2:3], v2
	ds_read_b64 v[8:9], v151 offset:27216
	v_add_co_u32_e32 v4, vcc, s5, v4
	v_addc_co_u32_e32 v5, vcc, v5, v10, vcc
	global_store_dwordx2 v[4:5], v[0:1], off
	v_mul_f64 v[0:1], v[6:7], s[2:3]
	v_mul_f64 v[2:3], v[2:3], s[2:3]
	s_waitcnt lgkmcnt(0)
	v_mul_f32_e32 v6, v121, v9
	v_fmac_f32_e32 v6, v120, v8
	v_mul_f32_e32 v8, v121, v8
	v_fma_f32 v8, v120, v9, -v8
	v_cvt_f64_f32_e32 v[6:7], v6
	v_cvt_f64_f32_e32 v[8:9], v8
	v_cvt_f32_f64_e32 v0, v[0:1]
	v_cvt_f32_f64_e32 v1, v[2:3]
	v_mul_f64 v[2:3], v[6:7], s[2:3]
	v_mul_f64 v[6:7], v[8:9], s[2:3]
	v_mov_b32_e32 v8, s4
	v_add_co_u32_e32 v4, vcc, s5, v4
	v_addc_co_u32_e32 v5, vcc, v5, v8, vcc
	global_store_dwordx2 v[4:5], v[0:1], off
	v_cvt_f32_f64_e32 v0, v[2:3]
	v_cvt_f32_f64_e32 v1, v[6:7]
	v_mov_b32_e32 v3, s4
	v_add_co_u32_e32 v2, vcc, s5, v4
	v_addc_co_u32_e32 v3, vcc, v5, v3, vcc
	global_store_dwordx2 v[2:3], v[0:1], off
.LBB0_2:
	s_endpgm
	.section	.rodata,"a",@progbits
	.p2align	6, 0x0
	.amdhsa_kernel bluestein_single_fwd_len3645_dim1_sp_op_CI_CI
		.amdhsa_group_segment_fixed_size 29160
		.amdhsa_private_segment_fixed_size 0
		.amdhsa_kernarg_size 104
		.amdhsa_user_sgpr_count 6
		.amdhsa_user_sgpr_private_segment_buffer 1
		.amdhsa_user_sgpr_dispatch_ptr 0
		.amdhsa_user_sgpr_queue_ptr 0
		.amdhsa_user_sgpr_kernarg_segment_ptr 1
		.amdhsa_user_sgpr_dispatch_id 0
		.amdhsa_user_sgpr_flat_scratch_init 0
		.amdhsa_user_sgpr_private_segment_size 0
		.amdhsa_uses_dynamic_stack 0
		.amdhsa_system_sgpr_private_segment_wavefront_offset 0
		.amdhsa_system_sgpr_workgroup_id_x 1
		.amdhsa_system_sgpr_workgroup_id_y 0
		.amdhsa_system_sgpr_workgroup_id_z 0
		.amdhsa_system_sgpr_workgroup_info 0
		.amdhsa_system_vgpr_workitem_id 0
		.amdhsa_next_free_vgpr 229
		.amdhsa_next_free_sgpr 20
		.amdhsa_reserve_vcc 1
		.amdhsa_reserve_flat_scratch 0
		.amdhsa_float_round_mode_32 0
		.amdhsa_float_round_mode_16_64 0
		.amdhsa_float_denorm_mode_32 3
		.amdhsa_float_denorm_mode_16_64 3
		.amdhsa_dx10_clamp 1
		.amdhsa_ieee_mode 1
		.amdhsa_fp16_overflow 0
		.amdhsa_exception_fp_ieee_invalid_op 0
		.amdhsa_exception_fp_denorm_src 0
		.amdhsa_exception_fp_ieee_div_zero 0
		.amdhsa_exception_fp_ieee_overflow 0
		.amdhsa_exception_fp_ieee_underflow 0
		.amdhsa_exception_fp_ieee_inexact 0
		.amdhsa_exception_int_div_zero 0
	.end_amdhsa_kernel
	.text
.Lfunc_end0:
	.size	bluestein_single_fwd_len3645_dim1_sp_op_CI_CI, .Lfunc_end0-bluestein_single_fwd_len3645_dim1_sp_op_CI_CI
                                        ; -- End function
	.section	.AMDGPU.csdata,"",@progbits
; Kernel info:
; codeLenInByte = 17240
; NumSgprs: 24
; NumVgprs: 229
; ScratchSize: 0
; MemoryBound: 0
; FloatMode: 240
; IeeeMode: 1
; LDSByteSize: 29160 bytes/workgroup (compile time only)
; SGPRBlocks: 2
; VGPRBlocks: 57
; NumSGPRsForWavesPerEU: 24
; NumVGPRsForWavesPerEU: 229
; Occupancy: 1
; WaveLimiterHint : 1
; COMPUTE_PGM_RSRC2:SCRATCH_EN: 0
; COMPUTE_PGM_RSRC2:USER_SGPR: 6
; COMPUTE_PGM_RSRC2:TRAP_HANDLER: 0
; COMPUTE_PGM_RSRC2:TGID_X_EN: 1
; COMPUTE_PGM_RSRC2:TGID_Y_EN: 0
; COMPUTE_PGM_RSRC2:TGID_Z_EN: 0
; COMPUTE_PGM_RSRC2:TIDIG_COMP_CNT: 0
	.type	__hip_cuid_6f2d6ce4eacf9932,@object ; @__hip_cuid_6f2d6ce4eacf9932
	.section	.bss,"aw",@nobits
	.globl	__hip_cuid_6f2d6ce4eacf9932
__hip_cuid_6f2d6ce4eacf9932:
	.byte	0                               ; 0x0
	.size	__hip_cuid_6f2d6ce4eacf9932, 1

	.ident	"AMD clang version 19.0.0git (https://github.com/RadeonOpenCompute/llvm-project roc-6.4.0 25133 c7fe45cf4b819c5991fe208aaa96edf142730f1d)"
	.section	".note.GNU-stack","",@progbits
	.addrsig
	.addrsig_sym __hip_cuid_6f2d6ce4eacf9932
	.amdgpu_metadata
---
amdhsa.kernels:
  - .args:
      - .actual_access:  read_only
        .address_space:  global
        .offset:         0
        .size:           8
        .value_kind:     global_buffer
      - .actual_access:  read_only
        .address_space:  global
        .offset:         8
        .size:           8
        .value_kind:     global_buffer
      - .actual_access:  read_only
        .address_space:  global
        .offset:         16
        .size:           8
        .value_kind:     global_buffer
      - .actual_access:  read_only
        .address_space:  global
        .offset:         24
        .size:           8
        .value_kind:     global_buffer
      - .actual_access:  read_only
        .address_space:  global
        .offset:         32
        .size:           8
        .value_kind:     global_buffer
      - .offset:         40
        .size:           8
        .value_kind:     by_value
      - .address_space:  global
        .offset:         48
        .size:           8
        .value_kind:     global_buffer
      - .address_space:  global
        .offset:         56
        .size:           8
        .value_kind:     global_buffer
      - .address_space:  global
        .offset:         64
        .size:           8
        .value_kind:     global_buffer
      - .address_space:  global
        .offset:         72
        .size:           8
        .value_kind:     global_buffer
      - .offset:         80
        .size:           4
        .value_kind:     by_value
      - .address_space:  global
        .offset:         88
        .size:           8
        .value_kind:     global_buffer
      - .address_space:  global
        .offset:         96
        .size:           8
        .value_kind:     global_buffer
    .group_segment_fixed_size: 29160
    .kernarg_segment_align: 8
    .kernarg_segment_size: 104
    .language:       OpenCL C
    .language_version:
      - 2
      - 0
    .max_flat_workgroup_size: 243
    .name:           bluestein_single_fwd_len3645_dim1_sp_op_CI_CI
    .private_segment_fixed_size: 0
    .sgpr_count:     24
    .sgpr_spill_count: 0
    .symbol:         bluestein_single_fwd_len3645_dim1_sp_op_CI_CI.kd
    .uniform_work_group_size: 1
    .uses_dynamic_stack: false
    .vgpr_count:     229
    .vgpr_spill_count: 0
    .wavefront_size: 64
amdhsa.target:   amdgcn-amd-amdhsa--gfx906
amdhsa.version:
  - 1
  - 2
...

	.end_amdgpu_metadata
